;; amdgpu-corpus repo=ROCm/rocFFT kind=compiled arch=gfx906 opt=O3
	.text
	.amdgcn_target "amdgcn-amd-amdhsa--gfx906"
	.amdhsa_code_object_version 6
	.protected	bluestein_single_back_len1512_dim1_half_op_CI_CI ; -- Begin function bluestein_single_back_len1512_dim1_half_op_CI_CI
	.globl	bluestein_single_back_len1512_dim1_half_op_CI_CI
	.p2align	8
	.type	bluestein_single_back_len1512_dim1_half_op_CI_CI,@function
bluestein_single_back_len1512_dim1_half_op_CI_CI: ; @bluestein_single_back_len1512_dim1_half_op_CI_CI
; %bb.0:
	s_load_dwordx4 s[16:19], s[4:5], 0x28
	v_mul_u32_u24_e32 v1, 0x411, v0
	v_add_u32_sdwa v16, s6, v1 dst_sel:DWORD dst_unused:UNUSED_PAD src0_sel:DWORD src1_sel:WORD_1
	v_mov_b32_e32 v17, 0
	s_waitcnt lgkmcnt(0)
	v_cmp_gt_u64_e32 vcc, s[16:17], v[16:17]
	s_and_saveexec_b64 s[0:1], vcc
	s_cbranch_execz .LBB0_10
; %bb.1:
	s_load_dwordx4 s[8:11], s[4:5], 0x18
	s_load_dwordx4 s[12:15], s[4:5], 0x0
	v_mov_b32_e32 v2, 63
	v_mul_lo_u16_sdwa v1, v1, v2 dst_sel:DWORD dst_unused:UNUSED_PAD src0_sel:WORD_1 src1_sel:DWORD
	v_sub_u16_e32 v111, v0, v1
	s_waitcnt lgkmcnt(0)
	s_load_dwordx4 s[0:3], s[8:9], 0x0
	v_lshlrev_b32_e32 v87, 2, v111
	global_load_dword v112, v87, s[12:13]
	v_add_u32_e32 v114, 0x400, v87
	v_add_u32_e32 v53, 0x600, v87
	s_waitcnt lgkmcnt(0)
	v_mad_u64_u32 v[0:1], s[6:7], s2, v16, 0
	v_mad_u64_u32 v[2:3], s[6:7], s0, v111, 0
	s_mul_hi_u32 s7, s0, 0xfffff52c
	s_mul_i32 s6, s1, 0xfffff52c
	v_mad_u64_u32 v[4:5], s[2:3], s3, v16, v[1:2]
	v_add_u32_e32 v65, 0xa00, v87
	v_lshlrev_b32_e32 v113, 3, v111
	v_mad_u64_u32 v[5:6], s[2:3], s1, v111, v[3:4]
	v_mov_b32_e32 v1, v4
	v_lshlrev_b64 v[0:1], 2, v[0:1]
	v_mov_b32_e32 v6, s19
	v_mov_b32_e32 v3, v5
	v_add_co_u32_e32 v4, vcc, s18, v0
	v_addc_co_u32_e32 v5, vcc, v6, v1, vcc
	v_lshlrev_b64 v[0:1], 2, v[2:3]
	s_mul_i32 s2, s1, 0xbd0
	v_add_co_u32_e32 v0, vcc, v4, v0
	v_addc_co_u32_e32 v1, vcc, v5, v1, vcc
	global_load_dword v2, v[0:1], off
	s_mul_hi_u32 s3, s0, 0xbd0
	s_add_i32 s2, s3, s2
	s_mul_i32 s3, s0, 0xbd0
	v_mov_b32_e32 v3, s2
	v_add_co_u32_e32 v0, vcc, s3, v0
	v_addc_co_u32_e32 v1, vcc, v1, v3, vcc
	global_load_dword v3, v[0:1], off
	global_load_dword v110, v87, s[12:13] offset:3024
	s_mul_i32 s1, s0, 0xfffff52c
	s_sub_i32 s0, s7, s0
	s_add_i32 s6, s0, s6
	v_mov_b32_e32 v6, s6
	v_add_co_u32_e32 v0, vcc, s1, v0
	v_addc_co_u32_e32 v1, vcc, v1, v6, vcc
	s_load_dwordx4 s[8:11], s[10:11], 0x0
	global_load_dword v107, v87, s[12:13] offset:3276
	global_load_dword v105, v87, s[12:13] offset:3528
	;; [unrolled: 1-line block ×4, first 2 shown]
	global_load_dword v6, v[0:1], off
	v_mov_b32_e32 v5, s2
	v_add_co_u32_e32 v0, vcc, s3, v0
	v_addc_co_u32_e32 v1, vcc, v1, v5, vcc
	global_load_dword v5, v[0:1], off
	global_load_dword v108, v87, s[12:13] offset:504
	global_load_dword v106, v87, s[12:13] offset:756
	;; [unrolled: 1-line block ×6, first 2 shown]
	v_mov_b32_e32 v8, s6
	v_add_co_u32_e32 v0, vcc, s1, v0
	v_addc_co_u32_e32 v1, vcc, v1, v8, vcc
	global_load_dword v8, v[0:1], off
	v_mov_b32_e32 v7, s2
	v_add_co_u32_e32 v0, vcc, s3, v0
	v_addc_co_u32_e32 v1, vcc, v1, v7, vcc
	global_load_dword v7, v[0:1], off
	global_load_dword v94, v87, s[12:13] offset:2016
	global_load_dword v92, v87, s[12:13] offset:2268
	;; [unrolled: 1-line block ×4, first 2 shown]
	v_mov_b32_e32 v9, s6
	v_add_co_u32_e32 v0, vcc, s1, v0
	v_addc_co_u32_e32 v1, vcc, v1, v9, vcc
	global_load_dword v9, v[0:1], off
	v_mov_b32_e32 v4, s13
	v_add_co_u32_e32 v11, vcc, s12, v87
	v_addc_co_u32_e32 v4, vcc, 0, v4, vcc
	v_mov_b32_e32 v10, s2
	v_add_co_u32_e32 v0, vcc, s3, v0
	v_addc_co_u32_e32 v1, vcc, v1, v10, vcc
	global_load_dword v15, v[0:1], off
	v_add_co_u32_e32 v0, vcc, s1, v0
	s_movk_i32 s0, 0x7e
	s_movk_i32 s7, 0x13b
                                        ; implicit-def: $vgpr238
                                        ; implicit-def: $vgpr204
                                        ; implicit-def: $vgpr205
                                        ; implicit-def: $vgpr240
	s_waitcnt vmcnt(22)
	v_lshrrev_b32_e32 v12, 16, v2
	v_mul_f16_sdwa v13, v112, v2 dst_sel:DWORD dst_unused:UNUSED_PAD src0_sel:WORD_1 src1_sel:DWORD
	v_mul_f16_sdwa v14, v112, v12 dst_sel:DWORD dst_unused:UNUSED_PAD src0_sel:WORD_1 src1_sel:DWORD
	v_fma_f16 v12, v112, v12, -v13
	v_fma_f16 v2, v112, v2, v14
	v_pack_b32_f16 v2, v2, v12
	v_mov_b32_e32 v12, s6
	v_addc_co_u32_e32 v1, vcc, v1, v12, vcc
	global_load_dword v12, v[0:1], off
	s_waitcnt vmcnt(22)
	v_lshrrev_b32_e32 v13, 16, v3
	v_mov_b32_e32 v14, s2
	v_add_co_u32_e32 v0, vcc, s3, v0
	s_waitcnt vmcnt(21)
	v_mul_f16_sdwa v10, v110, v13 dst_sel:DWORD dst_unused:UNUSED_PAD src0_sel:WORD_1 src1_sel:DWORD
	v_addc_co_u32_e32 v1, vcc, v1, v14, vcc
	global_load_dword v17, v[0:1], off
	global_load_dword v104, v87, s[12:13] offset:4032
	v_fma_f16 v10, v110, v3, v10
	v_mul_f16_sdwa v3, v110, v3 dst_sel:DWORD dst_unused:UNUSED_PAD src0_sel:WORD_1 src1_sel:DWORD
	v_fma_f16 v3, v110, v13, -v3
	v_mov_b32_e32 v13, s6
	v_add_co_u32_e32 v0, vcc, s1, v0
	v_addc_co_u32_e32 v1, vcc, v1, v13, vcc
	global_load_dword v13, v[0:1], off
	v_pack_b32_f16 v3, v10, v3
	ds_write_b32 v87, v3 offset:3024
	v_mov_b32_e32 v3, s2
	v_add_co_u32_e32 v0, vcc, s3, v0
	v_addc_co_u32_e32 v1, vcc, v1, v3, vcc
	s_waitcnt vmcnt(19)
	v_lshrrev_b32_e32 v3, 16, v6
	v_mul_f16_sdwa v10, v109, v3 dst_sel:DWORD dst_unused:UNUSED_PAD src0_sel:WORD_1 src1_sel:DWORD
	v_fma_f16 v10, v109, v6, v10
	v_mul_f16_sdwa v6, v109, v6 dst_sel:DWORD dst_unused:UNUSED_PAD src0_sel:WORD_1 src1_sel:DWORD
	v_fma_f16 v3, v109, v3, -v6
	v_pack_b32_f16 v3, v10, v3
	ds_write2_b32 v87, v2, v3 offset1:63
	s_waitcnt vmcnt(18)
	v_lshrrev_b32_e32 v2, 16, v5
	v_mul_f16_sdwa v3, v107, v2 dst_sel:DWORD dst_unused:UNUSED_PAD src0_sel:WORD_1 src1_sel:DWORD
	v_fma_f16 v3, v107, v5, v3
	v_mul_f16_sdwa v5, v107, v5 dst_sel:DWORD dst_unused:UNUSED_PAD src0_sel:WORD_1 src1_sel:DWORD
	v_fma_f16 v2, v107, v2, -v5
	v_pack_b32_f16 v2, v3, v2
	s_waitcnt vmcnt(11)
	v_lshrrev_b32_e32 v3, 16, v8
	v_mul_f16_sdwa v5, v108, v3 dst_sel:DWORD dst_unused:UNUSED_PAD src0_sel:WORD_1 src1_sel:DWORD
	v_mul_f16_sdwa v6, v108, v8 dst_sel:DWORD dst_unused:UNUSED_PAD src0_sel:WORD_1 src1_sel:DWORD
	v_fma_f16 v5, v108, v8, v5
	v_fma_f16 v3, v108, v3, -v6
	v_pack_b32_f16 v5, v5, v3
	s_waitcnt vmcnt(10)
	v_lshrrev_b32_e32 v3, 16, v7
	v_mul_f16_sdwa v6, v105, v3 dst_sel:DWORD dst_unused:UNUSED_PAD src0_sel:WORD_1 src1_sel:DWORD
	v_fma_f16 v6, v105, v7, v6
	v_mul_f16_sdwa v7, v105, v7 dst_sel:DWORD dst_unused:UNUSED_PAD src0_sel:WORD_1 src1_sel:DWORD
	v_fma_f16 v3, v105, v3, -v7
	v_add_co_u32_e32 v14, vcc, s0, v111
	v_pack_b32_f16 v3, v6, v3
	v_add_u32_e32 v10, 0xc00, v87
	s_movk_i32 s0, 0xbd
	s_waitcnt vmcnt(5)
	v_lshrrev_b32_e32 v6, 16, v9
	ds_write2_b32 v10, v2, v3 offset0:51 offset1:114
	v_add_co_u32_e32 v115, vcc, s0, v111
	v_mul_f16_sdwa v2, v106, v6 dst_sel:DWORD dst_unused:UNUSED_PAD src0_sel:WORD_1 src1_sel:DWORD
	s_movk_i32 s0, 0x1000
	v_fma_f16 v7, v106, v9, v2
	v_add_co_u32_e32 v2, vcc, s0, v11
	global_load_dword v18, v[0:1], off
	v_addc_co_u32_e32 v3, vcc, 0, v4, vcc
	global_load_dword v101, v[2:3], off offset:188
	v_mul_f16_sdwa v8, v106, v9 dst_sel:DWORD dst_unused:UNUSED_PAD src0_sel:WORD_1 src1_sel:DWORD
	v_fma_f16 v4, v106, v6, -v8
	v_pack_b32_f16 v4, v7, v4
	ds_write2_b32 v87, v5, v4 offset0:126 offset1:189
	s_waitcnt vmcnt(6)
	v_lshrrev_b32_e32 v4, 16, v15
	v_mul_f16_sdwa v5, v102, v4 dst_sel:DWORD dst_unused:UNUSED_PAD src0_sel:WORD_1 src1_sel:DWORD
	v_mul_f16_sdwa v6, v102, v15 dst_sel:DWORD dst_unused:UNUSED_PAD src0_sel:WORD_1 src1_sel:DWORD
	v_fma_f16 v5, v102, v15, v5
	v_fma_f16 v4, v102, v4, -v6
	v_pack_b32_f16 v4, v5, v4
	s_movk_i32 s0, 0xfc
	v_add_co_u32_e32 v51, vcc, s0, v111
	s_waitcnt vmcnt(5)
	v_lshrrev_b32_e32 v5, 16, v12
	v_mul_f16_sdwa v6, v103, v5 dst_sel:DWORD dst_unused:UNUSED_PAD src0_sel:WORD_1 src1_sel:DWORD
	v_mul_f16_sdwa v7, v103, v12 dst_sel:DWORD dst_unused:UNUSED_PAD src0_sel:WORD_1 src1_sel:DWORD
	v_fma_f16 v6, v103, v12, v6
	v_fma_f16 v5, v103, v5, -v7
	v_pack_b32_f16 v5, v6, v5
	v_add_co_u32_e32 v52, vcc, s7, v111
	s_waitcnt vmcnt(4)
	v_lshrrev_b32_e32 v6, 16, v17
	s_waitcnt vmcnt(3)
	v_mul_f16_sdwa v7, v104, v6 dst_sel:DWORD dst_unused:UNUSED_PAD src0_sel:WORD_1 src1_sel:DWORD
	v_mul_f16_sdwa v8, v104, v17 dst_sel:DWORD dst_unused:UNUSED_PAD src0_sel:WORD_1 src1_sel:DWORD
	v_fma_f16 v7, v104, v17, v7
	v_fma_f16 v6, v104, v6, -v8
	v_pack_b32_f16 v6, v7, v6
	ds_write2_b32 v10, v4, v6 offset0:177 offset1:240
	v_add_co_u32_e32 v0, vcc, s1, v0
	s_waitcnt vmcnt(2)
	v_lshrrev_b32_e32 v4, 16, v13
	v_mul_f16_sdwa v6, v100, v4 dst_sel:DWORD dst_unused:UNUSED_PAD src0_sel:WORD_1 src1_sel:DWORD
	v_mul_f16_sdwa v7, v100, v13 dst_sel:DWORD dst_unused:UNUSED_PAD src0_sel:WORD_1 src1_sel:DWORD
	v_fma_f16 v6, v100, v13, v6
	v_fma_f16 v4, v100, v4, -v7
	v_pack_b32_f16 v4, v6, v4
	v_add_u32_e32 v13, 0x200, v87
	ds_write2_b32 v13, v5, v4 offset0:124 offset1:187
	v_mov_b32_e32 v5, s6
	v_addc_co_u32_e32 v1, vcc, v1, v5, vcc
	global_load_dword v5, v[0:1], off
	v_mov_b32_e32 v6, s2
	v_add_co_u32_e32 v0, vcc, s3, v0
	v_addc_co_u32_e32 v1, vcc, v1, v6, vcc
	global_load_dword v6, v[0:1], off
	global_load_dword v99, v[2:3], off offset:440
	v_mov_b32_e32 v7, s6
	v_add_co_u32_e32 v0, vcc, s1, v0
	v_addc_co_u32_e32 v1, vcc, v1, v7, vcc
	global_load_dword v7, v[0:1], off
	v_mov_b32_e32 v8, s2
	v_add_co_u32_e32 v0, vcc, s3, v0
	v_addc_co_u32_e32 v1, vcc, v1, v8, vcc
	global_load_dword v8, v[0:1], off
	global_load_dword v97, v[2:3], off offset:692
	v_mov_b32_e32 v9, s6
	v_add_co_u32_e32 v0, vcc, s1, v0
	v_addc_co_u32_e32 v1, vcc, v1, v9, vcc
	global_load_dword v9, v[0:1], off
	v_mov_b32_e32 v11, s2
	v_add_co_u32_e32 v0, vcc, s3, v0
	v_addc_co_u32_e32 v1, vcc, v1, v11, vcc
	global_load_dword v11, v[0:1], off
	global_load_dword v95, v[2:3], off offset:944
	global_load_dword v93, v[2:3], off offset:1196
	;; [unrolled: 1-line block ×4, first 2 shown]
	v_mov_b32_e32 v3, s6
	v_add_co_u32_e32 v0, vcc, s1, v0
	v_addc_co_u32_e32 v1, vcc, v1, v3, vcc
	global_load_dword v3, v[0:1], off
	v_mov_b32_e32 v15, s2
	v_add_co_u32_e32 v0, vcc, s3, v0
	v_addc_co_u32_e32 v1, vcc, v1, v15, vcc
	global_load_dword v17, v[0:1], off
	s_waitcnt vmcnt(15)
	v_lshrrev_b32_e32 v4, 16, v18
	v_mov_b32_e32 v15, s6
	v_add_co_u32_e32 v0, vcc, s1, v0
	s_waitcnt vmcnt(14)
	v_mul_f16_sdwa v2, v101, v4 dst_sel:DWORD dst_unused:UNUSED_PAD src0_sel:WORD_1 src1_sel:DWORD
	v_addc_co_u32_e32 v1, vcc, v1, v15, vcc
	v_fma_f16 v2, v101, v18, v2
	v_mul_f16_sdwa v12, v101, v18 dst_sel:DWORD dst_unused:UNUSED_PAD src0_sel:WORD_1 src1_sel:DWORD
	global_load_dword v18, v[0:1], off
	v_mov_b32_e32 v15, s2
	v_add_co_u32_e32 v0, vcc, s3, v0
	v_addc_co_u32_e32 v1, vcc, v1, v15, vcc
	global_load_dword v19, v[0:1], off
	v_fma_f16 v4, v101, v4, -v12
	v_pack_b32_f16 v2, v2, v4
	v_mov_b32_e32 v4, s6
	v_add_co_u32_e32 v0, vcc, s1, v0
	v_addc_co_u32_e32 v1, vcc, v1, v4, vcc
	global_load_dword v4, v[0:1], off
	v_mov_b32_e32 v12, s2
	v_add_co_u32_e32 v0, vcc, s3, v0
	v_addc_co_u32_e32 v1, vcc, v1, v12, vcc
	global_load_dword v0, v[0:1], off
	v_add_u32_e32 v15, 0x1000, v87
	s_movk_i32 s1, 0x17a
	v_add_co_u32_e32 v54, vcc, s1, v111
	s_movk_i32 s1, 0x1b9
	v_add_co_u32_e32 v55, vcc, s1, v111
	s_waitcnt vmcnt(17)
	v_lshrrev_b32_e32 v1, 16, v5
	v_mul_f16_sdwa v12, v98, v1 dst_sel:DWORD dst_unused:UNUSED_PAD src0_sel:WORD_1 src1_sel:DWORD
	v_fma_f16 v12, v98, v5, v12
	v_mul_f16_sdwa v5, v98, v5 dst_sel:DWORD dst_unused:UNUSED_PAD src0_sel:WORD_1 src1_sel:DWORD
	v_fma_f16 v1, v98, v1, -v5
	s_waitcnt vmcnt(16)
	v_lshrrev_b32_e32 v5, 16, v6
	v_pack_b32_f16 v1, v12, v1
	s_waitcnt vmcnt(15)
	v_mul_f16_sdwa v12, v99, v5 dst_sel:DWORD dst_unused:UNUSED_PAD src0_sel:WORD_1 src1_sel:DWORD
	v_fma_f16 v12, v99, v6, v12
	v_mul_f16_sdwa v6, v99, v6 dst_sel:DWORD dst_unused:UNUSED_PAD src0_sel:WORD_1 src1_sel:DWORD
	v_fma_f16 v5, v99, v5, -v6
	v_pack_b32_f16 v5, v12, v5
	ds_write2_b32 v15, v2, v5 offset0:47 offset1:110
	s_waitcnt vmcnt(14)
	v_lshrrev_b32_e32 v2, 16, v7
	v_mul_f16_sdwa v5, v96, v2 dst_sel:DWORD dst_unused:UNUSED_PAD src0_sel:WORD_1 src1_sel:DWORD
	v_mul_f16_sdwa v6, v96, v7 dst_sel:DWORD dst_unused:UNUSED_PAD src0_sel:WORD_1 src1_sel:DWORD
	v_fma_f16 v5, v96, v7, v5
	v_fma_f16 v2, v96, v2, -v6
	v_pack_b32_f16 v2, v5, v2
	ds_write2_b32 v114, v1, v2 offset0:122 offset1:185
	s_waitcnt vmcnt(13)
	v_lshrrev_b32_e32 v1, 16, v8
	s_waitcnt vmcnt(12)
	v_mul_f16_sdwa v2, v97, v1 dst_sel:DWORD dst_unused:UNUSED_PAD src0_sel:WORD_1 src1_sel:DWORD
	v_mul_f16_sdwa v5, v97, v8 dst_sel:DWORD dst_unused:UNUSED_PAD src0_sel:WORD_1 src1_sel:DWORD
	v_fma_f16 v2, v97, v8, v2
	v_fma_f16 v1, v97, v1, -v5
	v_pack_b32_f16 v1, v2, v1
	s_waitcnt vmcnt(11)
	v_lshrrev_b32_e32 v2, 16, v9
	v_mul_f16_sdwa v5, v94, v2 dst_sel:DWORD dst_unused:UNUSED_PAD src0_sel:WORD_1 src1_sel:DWORD
	v_mul_f16_sdwa v6, v94, v9 dst_sel:DWORD dst_unused:UNUSED_PAD src0_sel:WORD_1 src1_sel:DWORD
	v_fma_f16 v5, v94, v9, v5
	v_fma_f16 v2, v94, v2, -v6
	v_pack_b32_f16 v2, v5, v2
	s_waitcnt vmcnt(10)
	v_lshrrev_b32_e32 v5, 16, v11
	s_waitcnt vmcnt(9)
	v_mul_f16_sdwa v6, v95, v5 dst_sel:DWORD dst_unused:UNUSED_PAD src0_sel:WORD_1 src1_sel:DWORD
	v_mul_f16_sdwa v7, v95, v11 dst_sel:DWORD dst_unused:UNUSED_PAD src0_sel:WORD_1 src1_sel:DWORD
	v_fma_f16 v6, v95, v11, v6
	v_fma_f16 v5, v95, v5, -v7
	v_pack_b32_f16 v5, v6, v5
	ds_write2_b32 v15, v1, v5 offset0:173 offset1:236
	s_waitcnt vmcnt(5)
	v_lshrrev_b32_e32 v1, 16, v3
	v_mul_f16_sdwa v5, v92, v1 dst_sel:DWORD dst_unused:UNUSED_PAD src0_sel:WORD_1 src1_sel:DWORD
	v_fma_f16 v5, v92, v3, v5
	v_mul_f16_sdwa v3, v92, v3 dst_sel:DWORD dst_unused:UNUSED_PAD src0_sel:WORD_1 src1_sel:DWORD
	v_fma_f16 v1, v92, v1, -v3
	v_pack_b32_f16 v1, v5, v1
	ds_write2_b32 v53, v2, v1 offset0:120 offset1:183
	s_waitcnt vmcnt(4)
	v_lshrrev_b32_e32 v1, 16, v17
	v_mul_f16_sdwa v2, v93, v1 dst_sel:DWORD dst_unused:UNUSED_PAD src0_sel:WORD_1 src1_sel:DWORD
	v_mul_f16_sdwa v3, v93, v17 dst_sel:DWORD dst_unused:UNUSED_PAD src0_sel:WORD_1 src1_sel:DWORD
	v_fma_f16 v2, v93, v17, v2
	v_fma_f16 v1, v93, v1, -v3
	v_pack_b32_f16 v1, v2, v1
	s_waitcnt vmcnt(3)
	v_lshrrev_b32_e32 v2, 16, v18
	v_mul_f16_sdwa v3, v90, v2 dst_sel:DWORD dst_unused:UNUSED_PAD src0_sel:WORD_1 src1_sel:DWORD
	v_mul_f16_sdwa v5, v90, v18 dst_sel:DWORD dst_unused:UNUSED_PAD src0_sel:WORD_1 src1_sel:DWORD
	v_fma_f16 v3, v90, v18, v3
	v_fma_f16 v2, v90, v2, -v5
	v_pack_b32_f16 v2, v3, v2
	s_waitcnt vmcnt(2)
	v_lshrrev_b32_e32 v3, 16, v19
	v_mul_f16_sdwa v5, v91, v3 dst_sel:DWORD dst_unused:UNUSED_PAD src0_sel:WORD_1 src1_sel:DWORD
	v_mul_f16_sdwa v6, v91, v19 dst_sel:DWORD dst_unused:UNUSED_PAD src0_sel:WORD_1 src1_sel:DWORD
	v_fma_f16 v5, v91, v19, v5
	v_fma_f16 v3, v91, v3, -v6
	v_pack_b32_f16 v3, v5, v3
	v_add_u32_e32 v11, 0x1400, v87
	ds_write2_b32 v11, v1, v3 offset0:43 offset1:106
	s_waitcnt vmcnt(1)
	v_lshrrev_b32_e32 v1, 16, v4
	v_mul_f16_sdwa v3, v88, v1 dst_sel:DWORD dst_unused:UNUSED_PAD src0_sel:WORD_1 src1_sel:DWORD
	v_fma_f16 v3, v88, v4, v3
	v_mul_f16_sdwa v4, v88, v4 dst_sel:DWORD dst_unused:UNUSED_PAD src0_sel:WORD_1 src1_sel:DWORD
	v_fma_f16 v1, v88, v1, -v4
	v_pack_b32_f16 v1, v3, v1
	v_add_u32_e32 v12, 0x800, v87
	ds_write2_b32 v12, v2, v1 offset0:118 offset1:181
	s_waitcnt vmcnt(0)
	v_lshrrev_b32_e32 v1, 16, v0
	v_mul_f16_sdwa v2, v89, v1 dst_sel:DWORD dst_unused:UNUSED_PAD src0_sel:WORD_1 src1_sel:DWORD
	v_fma_f16 v2, v89, v0, v2
	v_mul_f16_sdwa v0, v89, v0 dst_sel:DWORD dst_unused:UNUSED_PAD src0_sel:WORD_1 src1_sel:DWORD
	v_fma_f16 v0, v89, v1, -v0
	v_pack_b32_f16 v0, v2, v0
	ds_write_b32 v87, v0 offset:5796
	s_waitcnt lgkmcnt(0)
	; wave barrier
	s_waitcnt lgkmcnt(0)
	ds_read2_b32 v[2:3], v87 offset1:63
	ds_read2_b32 v[4:5], v65 offset0:116 offset1:179
	ds_read2_b32 v[6:7], v87 offset0:126 offset1:189
	;; [unrolled: 1-line block ×4, first 2 shown]
	v_lshlrev_b32_e32 v17, 1, v111
	v_lshlrev_b32_e32 v146, 3, v14
	s_waitcnt lgkmcnt(3)
	v_pk_add_f16 v5, v3, v5 neg_lo:[0,1] neg_hi:[0,1]
	s_waitcnt lgkmcnt(1)
	v_pk_add_f16 v19, v6, v8 neg_lo:[0,1] neg_hi:[0,1]
	v_pk_add_f16 v1, v2, v4 neg_lo:[0,1] neg_hi:[0,1]
	v_pk_fma_f16 v4, v3, 2.0, v5 op_sel_hi:[1,0,1] neg_lo:[0,0,1] neg_hi:[0,0,1]
	v_pk_fma_f16 v18, v6, 2.0, v19 op_sel_hi:[1,0,1] neg_lo:[0,0,1] neg_hi:[0,0,1]
	v_add_u32_e32 v6, 0xe00, v87
	v_add_u32_e32 v3, 0x1200, v87
	ds_read2_b32 v[22:23], v6 offset0:112 offset1:175
	ds_read2_b32 v[26:27], v114 offset0:122 offset1:185
	;; [unrolled: 1-line block ×7, first 2 shown]
	v_pk_fma_f16 v0, v2, 2.0, v1 op_sel_hi:[1,0,1] neg_lo:[0,0,1] neg_hi:[0,0,1]
	v_add_co_u32_e32 v2, vcc, 63, v111
	v_pk_add_f16 v8, v7, v9 neg_lo:[0,1] neg_hi:[0,1]
	s_waitcnt lgkmcnt(6)
	v_pk_add_f16 v25, v20, v22 neg_lo:[0,1] neg_hi:[0,1]
	v_pk_add_f16 v22, v21, v23 neg_lo:[0,1] neg_hi:[0,1]
	s_waitcnt lgkmcnt(4)
	v_pk_add_f16 v31, v26, v28 neg_lo:[0,1] neg_hi:[0,1]
	;; [unrolled: 3-line block ×4, first 2 shown]
	v_lshlrev_b32_e32 v9, 2, v17
	v_lshlrev_b32_e32 v145, 3, v2
	;; [unrolled: 1-line block ×3, first 2 shown]
	v_pk_fma_f16 v7, v7, 2.0, v8 op_sel_hi:[1,0,1] neg_lo:[0,0,1] neg_hi:[0,0,1]
	v_lshlrev_b32_e32 v149, 3, v51
	v_pk_fma_f16 v24, v20, 2.0, v25 op_sel_hi:[1,0,1] neg_lo:[0,0,1] neg_hi:[0,0,1]
	v_lshlrev_b32_e32 v151, 3, v52
	;; [unrolled: 2-line block ×3, first 2 shown]
	v_pk_fma_f16 v30, v26, 2.0, v31 op_sel_hi:[1,0,1] neg_lo:[0,0,1] neg_hi:[0,0,1]
	v_pk_fma_f16 v27, v27, 2.0, v28 op_sel_hi:[1,0,1] neg_lo:[0,0,1] neg_hi:[0,0,1]
	;; [unrolled: 1-line block ×5, first 2 shown]
	v_pk_add_f16 v36, v37, v39 neg_lo:[0,1] neg_hi:[0,1]
	v_lshlrev_b32_e32 v159, 3, v55
	s_waitcnt lgkmcnt(0)
	; wave barrier
	ds_write_b64 v113, v[0:1]
	ds_write_b64 v145, v[4:5]
	;; [unrolled: 1-line block ×8, first 2 shown]
	ds_write_b64 v9, v[40:41] offset:4032
	v_add_u32_e32 v0, 0x1000, v113
	v_and_b32_e32 v9, 1, v111
	v_pk_fma_f16 v35, v37, 2.0, v36 op_sel_hi:[1,0,1] neg_lo:[0,0,1] neg_hi:[0,0,1]
	ds_write2_b64 v0, v[33:34], v[42:43] offset0:55 offset1:118
	ds_write_b64 v113, v[35:36] offset:5544
	v_lshlrev_b32_e32 v0, 2, v9
	s_waitcnt lgkmcnt(0)
	; wave barrier
	s_waitcnt lgkmcnt(0)
	global_load_dword v116, v0, s[14:15]
	v_add_u32_e32 v4, 0x2b5, v111
	v_and_b32_e32 v40, 1, v115
	v_and_b32_e32 v38, 1, v2
	;; [unrolled: 1-line block ×3, first 2 shown]
	v_lshlrev_b32_e32 v5, 2, v40
	v_and_b32_e32 v41, 1, v52
	v_lshlrev_b32_e32 v0, 2, v38
	v_lshlrev_b32_e32 v1, 2, v39
	;; [unrolled: 1-line block ×3, first 2 shown]
	global_load_ushort v126, v5, s[14:15] offset:2
	global_load_ushort v123, v7, s[14:15]
	global_load_ushort v124, v7, s[14:15] offset:2
	global_load_ushort v118, v1, s[14:15] offset:2
	global_load_dword v119, v1, s[14:15]
	global_load_ushort v131, v0, s[14:15]
	global_load_ushort v128, v5, s[14:15]
	ds_read2_b32 v[0:1], v87 offset1:63
	ds_read2_b32 v[7:8], v65 offset0:116 offset1:179
	v_add_u32_e32 v5, 0x237, v111
	v_and_b32_e32 v42, 1, v55
	v_and_b32_e32 v43, 1, v5
	s_waitcnt lgkmcnt(1)
	v_lshrrev_b32_e32 v18, 16, v0
	s_waitcnt lgkmcnt(0)
	v_lshrrev_b32_e32 v19, 16, v7
	s_movk_i32 s1, 0x7c
	v_and_or_b32 v44, v17, s1, v9
	v_lshlrev_b32_e32 v117, 2, v44
	v_lshlrev_b32_e32 v44, 1, v2
	;; [unrolled: 1-line block ×4, first 2 shown]
	s_movk_i32 s1, 0x2fc
	v_lshlrev_b32_e32 v47, 1, v52
	v_lshlrev_b32_e32 v48, 1, v55
	;; [unrolled: 1-line block ×3, first 2 shown]
	v_and_b32_e32 v57, 3, v5
	v_and_b32_e32 v50, 3, v2
	;; [unrolled: 1-line block ×12, first 2 shown]
	v_addc_co_u32_e64 v56, s[2:3], 0, 0, vcc
	s_movk_i32 s2, 0xab
	s_waitcnt vmcnt(7)
	v_mul_f16_sdwa v20, v19, v116 dst_sel:DWORD dst_unused:UNUSED_PAD src0_sel:DWORD src1_sel:WORD_1
	v_fma_f16 v20, v7, v116, -v20
	v_mul_f16_sdwa v7, v7, v116 dst_sel:DWORD dst_unused:UNUSED_PAD src0_sel:DWORD src1_sel:WORD_1
	v_fma_f16 v7, v19, v116, v7
	v_sub_f16_e32 v20, v0, v20
	v_sub_f16_e32 v7, v18, v7
	v_lshlrev_b32_e32 v19, 2, v42
	v_fma_f16 v0, v0, 2.0, -v20
	v_fma_f16 v18, v18, 2.0, -v7
	v_pack_b32_f16 v0, v0, v18
	v_lshlrev_b32_e32 v18, 2, v43
	global_load_ushort v132, v19, s[14:15]
	global_load_ushort v134, v19, s[14:15] offset:2
	global_load_ushort v129, v18, s[14:15]
	global_load_ushort v130, v18, s[14:15] offset:2
	v_pack_b32_f16 v7, v20, v7
	ds_read2_b32 v[18:19], v87 offset0:126 offset1:189
	ds_read2_b32 v[20:21], v10 offset0:114 offset1:177
	;; [unrolled: 1-line block ×10, first 2 shown]
	s_waitcnt lgkmcnt(0)
	; wave barrier
	s_waitcnt lgkmcnt(0)
	ds_write2_b32 v117, v0, v7 offset1:2
	v_lshrrev_b32_e32 v0, 16, v8
	s_waitcnt vmcnt(6)
	v_mul_f16_sdwa v7, v0, v119 dst_sel:DWORD dst_unused:UNUSED_PAD src0_sel:DWORD src1_sel:WORD_1
	s_waitcnt vmcnt(5)
	v_fma_f16 v7, v8, v131, -v7
	v_mul_f16_sdwa v8, v8, v119 dst_sel:DWORD dst_unused:UNUSED_PAD src0_sel:DWORD src1_sel:WORD_1
	v_fma_f16 v0, v0, v131, v8
	v_lshrrev_b32_e32 v8, 16, v1
	v_sub_f16_e32 v7, v1, v7
	v_sub_f16_e32 v0, v8, v0
	v_fma_f16 v1, v1, 2.0, -v7
	v_fma_f16 v8, v8, 2.0, -v0
	v_pack_b32_f16 v0, v7, v0
	v_and_or_b32 v7, v44, s0, v38
	v_pack_b32_f16 v1, v1, v8
	v_lshlrev_b32_e32 v120, 2, v7
	ds_write2_b32 v120, v1, v0 offset1:2
	v_lshrrev_b32_e32 v0, 16, v20
	v_mul_f16_sdwa v1, v20, v116 dst_sel:DWORD dst_unused:UNUSED_PAD src0_sel:DWORD src1_sel:WORD_1
	v_fma_f16 v1, v0, v116, v1
	v_mul_f16_sdwa v0, v0, v116 dst_sel:DWORD dst_unused:UNUSED_PAD src0_sel:DWORD src1_sel:WORD_1
	v_fma_f16 v0, v20, v116, -v0
	v_lshrrev_b32_e32 v7, 16, v18
	v_sub_f16_e32 v0, v18, v0
	v_sub_f16_e32 v1, v7, v1
	s_movk_i32 s0, 0x1fc
	v_fma_f16 v7, v7, 2.0, -v1
	v_fma_f16 v8, v18, 2.0, -v0
	v_pack_b32_f16 v0, v0, v1
	v_and_or_b32 v1, v45, s0, v9
	v_pack_b32_f16 v7, v8, v7
	v_lshlrev_b32_e32 v122, 2, v1
	ds_write2_b32 v122, v7, v0 offset1:2
	v_lshrrev_b32_e32 v0, 16, v21
	v_mul_f16_e32 v1, v0, v126
	v_mul_f16_e32 v7, v21, v126
	s_waitcnt vmcnt(4)
	v_fma_f16 v1, v21, v128, -v1
	v_fma_f16 v0, v0, v128, v7
	v_lshrrev_b32_e32 v7, 16, v19
	v_sub_f16_e32 v1, v19, v1
	v_sub_f16_e32 v0, v7, v0
	v_fma_f16 v8, v19, 2.0, -v1
	v_fma_f16 v7, v7, 2.0, -v0
	v_pack_b32_f16 v0, v1, v0
	v_and_or_b32 v1, v46, s0, v40
	v_pack_b32_f16 v7, v8, v7
	v_lshlrev_b32_e32 v127, 2, v1
	ds_write2_b32 v127, v7, v0 offset1:2
	v_lshrrev_b32_e32 v0, 16, v24
	v_mul_f16_sdwa v1, v24, v116 dst_sel:DWORD dst_unused:UNUSED_PAD src0_sel:DWORD src1_sel:WORD_1
	v_fma_f16 v1, v0, v116, v1
	v_mul_f16_sdwa v0, v0, v116 dst_sel:DWORD dst_unused:UNUSED_PAD src0_sel:DWORD src1_sel:WORD_1
	v_fma_f16 v0, v24, v116, -v0
	v_lshrrev_b32_e32 v7, 16, v22
	v_sub_f16_e32 v0, v22, v0
	v_sub_f16_e32 v1, v7, v1
	s_movk_i32 s0, 0x3fc
	v_lshlrev_b32_e32 v40, 1, v51
	v_fma_f16 v7, v7, 2.0, -v1
	v_fma_f16 v8, v22, 2.0, -v0
	v_pack_b32_f16 v0, v0, v1
	v_and_or_b32 v1, v40, s0, v9
	v_pack_b32_f16 v7, v8, v7
	v_lshlrev_b32_e32 v135, 2, v1
	ds_write2_b32 v135, v7, v0 offset1:2
	v_lshrrev_b32_e32 v0, 16, v25
	v_mul_f16_e32 v1, v0, v124
	v_mul_f16_e32 v7, v25, v124
	v_fma_f16 v1, v25, v123, -v1
	v_fma_f16 v0, v0, v123, v7
	v_lshrrev_b32_e32 v7, 16, v23
	v_sub_f16_e32 v1, v23, v1
	v_sub_f16_e32 v0, v7, v0
	v_fma_f16 v8, v23, 2.0, -v1
	v_fma_f16 v7, v7, 2.0, -v0
	v_pack_b32_f16 v0, v1, v0
	v_and_or_b32 v1, v47, s1, v41
	v_pack_b32_f16 v7, v8, v7
	v_lshlrev_b32_e32 v142, 2, v1
	ds_write2_b32 v142, v7, v0 offset1:2
	v_lshrrev_b32_e32 v0, 16, v28
	v_mul_f16_sdwa v1, v28, v116 dst_sel:DWORD dst_unused:UNUSED_PAD src0_sel:DWORD src1_sel:WORD_1
	v_fma_f16 v1, v0, v116, v1
	v_mul_f16_sdwa v0, v0, v116 dst_sel:DWORD dst_unused:UNUSED_PAD src0_sel:DWORD src1_sel:WORD_1
	v_fma_f16 v0, v28, v116, -v0
	v_lshrrev_b32_e32 v7, 16, v26
	v_sub_f16_e32 v0, v26, v0
	v_sub_f16_e32 v1, v7, v1
	v_lshlrev_b32_e32 v41, 1, v54
	v_fma_f16 v7, v7, 2.0, -v1
	v_fma_f16 v8, v26, 2.0, -v0
	v_pack_b32_f16 v0, v0, v1
	v_and_or_b32 v1, v41, s0, v9
	v_pack_b32_f16 v7, v8, v7
	v_lshlrev_b32_e32 v150, 2, v1
	ds_write2_b32 v150, v7, v0 offset1:2
	v_lshrrev_b32_e32 v0, 16, v29
	s_waitcnt vmcnt(2)
	v_mul_f16_e32 v1, v0, v134
	v_mul_f16_e32 v7, v29, v134
	v_fma_f16 v1, v29, v132, -v1
	v_fma_f16 v0, v0, v132, v7
	v_lshrrev_b32_e32 v7, 16, v27
	v_sub_f16_e32 v1, v27, v1
	v_sub_f16_e32 v0, v7, v0
	v_fma_f16 v8, v27, 2.0, -v1
	v_fma_f16 v7, v7, 2.0, -v0
	v_pack_b32_f16 v0, v1, v0
	v_and_or_b32 v1, v48, s0, v42
	v_pack_b32_f16 v7, v8, v7
	v_lshlrev_b32_e32 v156, 2, v1
	ds_write2_b32 v156, v7, v0 offset1:2
	v_lshrrev_b32_e32 v0, 16, v32
	v_mul_f16_sdwa v1, v32, v116 dst_sel:DWORD dst_unused:UNUSED_PAD src0_sel:DWORD src1_sel:WORD_1
	v_fma_f16 v1, v0, v116, v1
	v_mul_f16_sdwa v0, v0, v116 dst_sel:DWORD dst_unused:UNUSED_PAD src0_sel:DWORD src1_sel:WORD_1
	v_fma_f16 v0, v32, v116, -v0
	v_lshrrev_b32_e32 v7, 16, v30
	v_sub_f16_e32 v0, v30, v0
	v_sub_f16_e32 v1, v7, v1
	v_fma_f16 v7, v7, 2.0, -v1
	v_fma_f16 v8, v30, 2.0, -v0
	v_pack_b32_f16 v8, v8, v7
	s_movk_i32 s0, 0x7fc
	v_add_u32_e32 v7, 0x3f0, v17
	v_pack_b32_f16 v0, v0, v1
	v_and_or_b32 v1, v7, s0, v9
	v_lshlrev_b32_e32 v163, 2, v1
	ds_write2_b32 v163, v8, v0 offset1:2
	v_lshrrev_b32_e32 v0, 16, v33
	s_waitcnt vmcnt(0)
	v_mul_f16_e32 v1, v0, v130
	v_mul_f16_e32 v8, v33, v130
	v_fma_f16 v1, v33, v129, -v1
	v_fma_f16 v0, v0, v129, v8
	v_lshrrev_b32_e32 v8, 16, v31
	v_sub_f16_e32 v1, v31, v1
	v_sub_f16_e32 v0, v8, v0
	s_movk_i32 s0, 0x4fc
	v_lshlrev_b32_e32 v42, 1, v5
	v_fma_f16 v18, v31, 2.0, -v1
	v_fma_f16 v8, v8, 2.0, -v0
	v_pack_b32_f16 v0, v1, v0
	v_and_or_b32 v1, v42, s0, v43
	v_pack_b32_f16 v8, v18, v8
	v_lshlrev_b32_e32 v171, 2, v1
	ds_write2_b32 v171, v8, v0 offset1:2
	v_lshrrev_b32_e32 v0, 16, v36
	v_mul_f16_sdwa v1, v36, v116 dst_sel:DWORD dst_unused:UNUSED_PAD src0_sel:DWORD src1_sel:WORD_1
	v_fma_f16 v1, v0, v116, v1
	v_mul_f16_sdwa v0, v0, v116 dst_sel:DWORD dst_unused:UNUSED_PAD src0_sel:DWORD src1_sel:WORD_1
	v_fma_f16 v0, v36, v116, -v0
	v_lshrrev_b32_e32 v8, 16, v34
	v_sub_f16_e32 v0, v34, v0
	v_sub_f16_e32 v1, v8, v1
	v_fma_f16 v8, v8, 2.0, -v1
	v_fma_f16 v18, v34, 2.0, -v0
	v_pack_b32_f16 v18, v18, v8
	v_add_u32_e32 v8, 0x276, v111
	s_movk_i32 s0, 0x5fc
	v_lshlrev_b32_e32 v43, 1, v8
	v_pack_b32_f16 v0, v0, v1
	v_and_or_b32 v1, v43, s0, v9
	v_lshlrev_b32_e32 v174, 2, v1
	ds_write2_b32 v174, v18, v0 offset1:2
	v_lshrrev_b32_e32 v0, 16, v37
	v_mul_f16_e32 v1, v0, v118
	v_mul_f16_e32 v9, v37, v118
	v_fma_f16 v1, v37, v119, -v1
	v_fma_f16 v0, v0, v119, v9
	v_lshrrev_b32_e32 v9, 16, v35
	v_sub_f16_e32 v1, v35, v1
	v_sub_f16_e32 v0, v9, v0
	v_fma_f16 v18, v35, 2.0, -v1
	v_fma_f16 v9, v9, 2.0, -v0
	v_pack_b32_f16 v0, v1, v0
	v_and_or_b32 v1, v49, s0, v39
	v_pack_b32_f16 v9, v18, v9
	v_lshlrev_b32_e32 v178, 2, v1
	ds_write2_b32 v178, v9, v0 offset1:2
	v_and_b32_e32 v9, 3, v111
	v_lshlrev_b32_e32 v0, 2, v9
	s_waitcnt lgkmcnt(0)
	; wave barrier
	s_waitcnt lgkmcnt(0)
	global_load_dword v136, v0, s[14:15] offset:8
	v_lshlrev_b32_e32 v18, 2, v57
	v_lshlrev_b32_e32 v0, 2, v50
	global_load_dword v137, v18, s[14:15] offset:8
	global_load_ushort v154, v0, s[14:15] offset:8
	v_and_b32_e32 v58, 3, v8
	v_lshlrev_b32_e32 v0, 2, v58
	v_lshlrev_b32_e32 v1, 2, v59
	;; [unrolled: 1-line block ×3, first 2 shown]
	global_load_ushort v139, v0, s[14:15] offset:10
	global_load_ushort v155, v19, s[14:15] offset:8
	global_load_dword v140, v0, s[14:15] offset:8
	global_load_ushort v157, v1, s[14:15] offset:8
	v_lshlrev_b32_e32 v20, 2, v61
	ds_read2_b32 v[0:1], v65 offset0:116 offset1:179
	global_load_dword v141, v20, s[14:15] offset:8
	global_load_ushort v144, v18, s[14:15] offset:10
	ds_read2_b32 v[18:19], v87 offset1:63
	s_movk_i32 s0, 0x78
	v_and_or_b32 v17, v17, s0, v9
	s_waitcnt lgkmcnt(1)
	v_lshrrev_b32_e32 v21, 16, v0
	v_lshlrev_b32_e32 v138, 2, v17
	s_movk_i32 s0, 0xf8
	s_movk_i32 s1, 0x2f8
	s_waitcnt vmcnt(8)
	v_mul_f16_sdwa v22, v0, v136 dst_sel:DWORD dst_unused:UNUSED_PAD src0_sel:DWORD src1_sel:WORD_1
	v_fma_f16 v22, v21, v136, v22
	v_mul_f16_sdwa v21, v21, v136 dst_sel:DWORD dst_unused:UNUSED_PAD src0_sel:DWORD src1_sel:WORD_1
	v_fma_f16 v0, v0, v136, -v21
	s_waitcnt lgkmcnt(0)
	v_lshrrev_b32_e32 v21, 16, v18
	v_sub_f16_e32 v0, v18, v0
	v_sub_f16_e32 v22, v21, v22
	v_fma_f16 v21, v21, 2.0, -v22
	v_fma_f16 v18, v18, 2.0, -v0
	v_pack_b32_f16 v18, v18, v21
	v_pack_b32_f16 v0, v0, v22
	v_lshlrev_b32_e32 v21, 2, v62
	v_lshlrev_b32_e32 v22, 2, v63
	global_load_ushort v164, v21, s[14:15] offset:10
	global_load_ushort v161, v22, s[14:15] offset:8
	;; [unrolled: 1-line block ×3, first 2 shown]
	v_lshlrev_b32_e32 v22, 2, v64
	global_load_ushort v168, v21, s[14:15] offset:8
	global_load_ushort v170, v22, s[14:15] offset:10
	;; [unrolled: 1-line block ×4, first 2 shown]
	ds_read2_b32 v[20:21], v87 offset0:126 offset1:189
	ds_read2_b32 v[22:23], v10 offset0:114 offset1:177
	;; [unrolled: 1-line block ×10, first 2 shown]
	s_waitcnt lgkmcnt(0)
	; wave barrier
	s_waitcnt lgkmcnt(0)
	ds_write2_b32 v138, v18, v0 offset1:4
	v_lshrrev_b32_e32 v0, 16, v1
	s_waitcnt vmcnt(14)
	v_mul_f16_sdwa v17, v0, v137 dst_sel:DWORD dst_unused:UNUSED_PAD src0_sel:DWORD src1_sel:WORD_1
	s_waitcnt vmcnt(13)
	v_fma_f16 v17, v1, v154, -v17
	v_mul_f16_sdwa v1, v1, v137 dst_sel:DWORD dst_unused:UNUSED_PAD src0_sel:DWORD src1_sel:WORD_1
	v_fma_f16 v0, v0, v154, v1
	v_sub_f16_e32 v1, v19, v17
	v_lshrrev_b32_e32 v17, 16, v19
	v_sub_f16_e32 v0, v17, v0
	v_fma_f16 v18, v19, 2.0, -v1
	v_and_or_b32 v19, v44, s0, v50
	v_fma_f16 v17, v17, 2.0, -v0
	v_pack_b32_f16 v17, v18, v17
	v_pack_b32_f16 v0, v1, v0
	v_lshlrev_b32_e32 v143, 2, v19
	ds_write2_b32 v143, v17, v0 offset1:4
	v_lshrrev_b32_e32 v1, 16, v22
	s_waitcnt vmcnt(10)
	v_mul_f16_sdwa v17, v22, v140 dst_sel:DWORD dst_unused:UNUSED_PAD src0_sel:DWORD src1_sel:WORD_1
	s_waitcnt vmcnt(9)
	v_fma_f16 v17, v1, v157, v17
	v_mul_f16_sdwa v1, v1, v140 dst_sel:DWORD dst_unused:UNUSED_PAD src0_sel:DWORD src1_sel:WORD_1
	v_fma_f16 v1, v22, v157, -v1
	v_lshrrev_b32_e32 v18, 16, v20
	s_movk_i32 s0, 0x1f8
	v_sub_f16_e32 v1, v20, v1
	v_sub_f16_e32 v17, v18, v17
	v_and_or_b32 v0, v45, s0, v59
	v_fma_f16 v18, v18, 2.0, -v17
	v_fma_f16 v19, v20, 2.0, -v1
	v_pack_b32_f16 v18, v19, v18
	v_pack_b32_f16 v1, v1, v17
	v_lshlrev_b32_e32 v153, 2, v0
	v_lshrrev_b32_e32 v0, 16, v23
	ds_write2_b32 v153, v18, v1 offset1:4
	s_waitcnt vmcnt(8)
	v_mul_f16_sdwa v1, v0, v141 dst_sel:DWORD dst_unused:UNUSED_PAD src0_sel:DWORD src1_sel:WORD_1
	v_mul_f16_sdwa v17, v23, v141 dst_sel:DWORD dst_unused:UNUSED_PAD src0_sel:DWORD src1_sel:WORD_1
	v_fma_f16 v1, v23, v155, -v1
	v_fma_f16 v0, v0, v155, v17
	v_lshrrev_b32_e32 v17, 16, v21
	v_sub_f16_e32 v1, v21, v1
	v_sub_f16_e32 v0, v17, v0
	v_fma_f16 v18, v21, 2.0, -v1
	v_and_or_b32 v19, v46, s0, v60
	v_fma_f16 v17, v17, 2.0, -v0
	v_pack_b32_f16 v17, v18, v17
	v_pack_b32_f16 v0, v1, v0
	v_lshlrev_b32_e32 v160, 2, v19
	ds_write2_b32 v160, v17, v0 offset1:4
	v_lshrrev_b32_e32 v0, 16, v26
	v_mul_f16_sdwa v1, v26, v136 dst_sel:DWORD dst_unused:UNUSED_PAD src0_sel:DWORD src1_sel:WORD_1
	v_fma_f16 v1, v0, v136, v1
	v_mul_f16_sdwa v0, v0, v136 dst_sel:DWORD dst_unused:UNUSED_PAD src0_sel:DWORD src1_sel:WORD_1
	v_fma_f16 v0, v26, v136, -v0
	v_lshrrev_b32_e32 v17, 16, v24
	v_sub_f16_e32 v0, v24, v0
	v_sub_f16_e32 v1, v17, v1
	s_movk_i32 s0, 0x3f8
	v_fma_f16 v17, v17, 2.0, -v1
	v_fma_f16 v18, v24, 2.0, -v0
	v_pack_b32_f16 v0, v0, v1
	v_and_or_b32 v1, v40, s0, v9
	v_pack_b32_f16 v17, v18, v17
	v_lshlrev_b32_e32 v167, 2, v1
	ds_write2_b32 v167, v17, v0 offset1:4
	v_lshrrev_b32_e32 v0, 16, v27
	v_and_or_b32 v19, v47, s1, v64
	v_lshlrev_b32_e32 v172, 2, v19
	v_and_b32_e32 v50, 7, v2
	s_mov_b32 s1, 0xbaee
	s_waitcnt vmcnt(2)
	v_mul_f16_e32 v1, v0, v170
	v_mul_f16_e32 v17, v27, v170
	s_waitcnt vmcnt(1)
	v_fma_f16 v1, v27, v169, -v1
	v_fma_f16 v0, v0, v169, v17
	v_lshrrev_b32_e32 v17, 16, v25
	v_sub_f16_e32 v1, v25, v1
	v_sub_f16_e32 v0, v17, v0
	v_fma_f16 v18, v25, 2.0, -v1
	v_fma_f16 v17, v17, 2.0, -v0
	v_pack_b32_f16 v17, v18, v17
	v_pack_b32_f16 v0, v1, v0
	ds_write2_b32 v172, v17, v0 offset1:4
	v_lshrrev_b32_e32 v1, 16, v30
	v_mul_f16_e32 v17, v30, v164
	v_fma_f16 v17, v1, v168, v17
	v_mul_f16_e32 v1, v1, v164
	v_fma_f16 v1, v30, v168, -v1
	v_lshrrev_b32_e32 v18, 16, v28
	v_sub_f16_e32 v1, v28, v1
	v_sub_f16_e32 v17, v18, v17
	v_and_or_b32 v0, v41, s0, v62
	v_fma_f16 v18, v18, 2.0, -v17
	v_fma_f16 v19, v28, 2.0, -v1
	v_pack_b32_f16 v18, v19, v18
	v_pack_b32_f16 v1, v1, v17
	v_lshlrev_b32_e32 v175, 2, v0
	v_lshrrev_b32_e32 v0, 16, v31
	ds_write2_b32 v175, v18, v1 offset1:4
	v_mul_f16_e32 v1, v0, v162
	v_mul_f16_e32 v17, v31, v162
	v_fma_f16 v1, v31, v161, -v1
	v_fma_f16 v0, v0, v161, v17
	v_lshrrev_b32_e32 v17, 16, v29
	v_sub_f16_e32 v1, v29, v1
	v_sub_f16_e32 v0, v17, v0
	v_fma_f16 v18, v29, 2.0, -v1
	v_and_or_b32 v19, v48, s0, v63
	v_fma_f16 v17, v17, 2.0, -v0
	v_pack_b32_f16 v17, v18, v17
	v_pack_b32_f16 v0, v1, v0
	v_lshlrev_b32_e32 v177, 2, v19
	ds_write2_b32 v177, v17, v0 offset1:4
	v_lshrrev_b32_e32 v0, 16, v34
	v_mul_f16_sdwa v1, v34, v136 dst_sel:DWORD dst_unused:UNUSED_PAD src0_sel:DWORD src1_sel:WORD_1
	v_fma_f16 v1, v0, v136, v1
	v_mul_f16_sdwa v0, v0, v136 dst_sel:DWORD dst_unused:UNUSED_PAD src0_sel:DWORD src1_sel:WORD_1
	v_fma_f16 v0, v34, v136, -v0
	v_lshrrev_b32_e32 v17, 16, v32
	v_sub_f16_e32 v0, v32, v0
	v_sub_f16_e32 v1, v17, v1
	s_movk_i32 s0, 0x7f8
	v_fma_f16 v17, v17, 2.0, -v1
	v_fma_f16 v18, v32, 2.0, -v0
	v_pack_b32_f16 v0, v0, v1
	v_and_or_b32 v1, v7, s0, v9
	v_pack_b32_f16 v17, v18, v17
	v_lshlrev_b32_e32 v179, 2, v1
	ds_write2_b32 v179, v17, v0 offset1:4
	v_lshrrev_b32_e32 v0, 16, v35
	v_mul_f16_e32 v1, v0, v144
	v_mul_f16_e32 v9, v35, v144
	v_fma_f16 v1, v35, v137, -v1
	v_fma_f16 v0, v0, v137, v9
	v_lshrrev_b32_e32 v9, 16, v33
	v_sub_f16_e32 v1, v33, v1
	s_movk_i32 s0, 0x4f8
	v_sub_f16_e32 v0, v9, v0
	v_fma_f16 v17, v33, 2.0, -v1
	v_and_or_b32 v18, v42, s0, v57
	v_fma_f16 v9, v9, 2.0, -v0
	v_pack_b32_f16 v9, v17, v9
	v_pack_b32_f16 v0, v1, v0
	v_lshlrev_b32_e32 v182, 2, v18
	ds_write2_b32 v182, v9, v0 offset1:4
	v_lshrrev_b32_e32 v1, 16, v38
	v_mul_f16_e32 v9, v38, v139
	v_fma_f16 v9, v1, v140, v9
	v_mul_f16_e32 v1, v1, v139
	v_fma_f16 v1, v38, v140, -v1
	v_lshrrev_b32_e32 v17, 16, v36
	s_movk_i32 s0, 0x5f8
	v_sub_f16_e32 v1, v36, v1
	v_sub_f16_e32 v9, v17, v9
	v_and_or_b32 v0, v43, s0, v58
	v_fma_f16 v17, v17, 2.0, -v9
	v_fma_f16 v18, v36, 2.0, -v1
	v_pack_b32_f16 v17, v18, v17
	v_pack_b32_f16 v1, v1, v9
	v_lshlrev_b32_e32 v183, 2, v0
	v_lshrrev_b32_e32 v0, 16, v39
	ds_write2_b32 v183, v17, v1 offset1:4
	s_waitcnt vmcnt(0)
	v_mul_f16_e32 v1, v0, v158
	v_mul_f16_e32 v9, v39, v158
	v_fma_f16 v1, v39, v141, -v1
	v_fma_f16 v0, v0, v141, v9
	v_lshrrev_b32_e32 v9, 16, v37
	v_sub_f16_e32 v1, v37, v1
	v_sub_f16_e32 v0, v9, v0
	v_fma_f16 v17, v37, 2.0, -v1
	v_and_or_b32 v18, v49, s0, v61
	v_fma_f16 v9, v9, 2.0, -v0
	v_pack_b32_f16 v9, v17, v9
	v_pack_b32_f16 v0, v1, v0
	v_lshlrev_b32_e32 v186, 2, v18
	ds_write2_b32 v186, v9, v0 offset1:4
	v_and_b32_e32 v9, 7, v111
	v_lshlrev_b32_e32 v0, 3, v9
	s_waitcnt lgkmcnt(0)
	; wave barrier
	s_waitcnt lgkmcnt(0)
	global_load_dwordx2 v[23:24], v0, s[14:15] offset:24
	v_lshlrev_b32_e32 v0, 3, v50
	global_load_dwordx2 v[19:20], v0, s[14:15] offset:24
	v_and_b32_e32 v61, 7, v14
	v_lshlrev_b32_e32 v26, 3, v61
	v_and_b32_e32 v62, 7, v115
	ds_read2_b32 v[0:1], v53 offset0:120 offset1:183
	ds_read2_b32 v[32:33], v6 offset0:112 offset1:175
	v_lshlrev_b32_e32 v27, 3, v62
	global_load_dwordx2 v[21:22], v26, s[14:15] offset:24
	global_load_dwordx2 v[17:18], v27, s[14:15] offset:24
	ds_read2_b32 v[34:35], v87 offset1:63
	s_waitcnt lgkmcnt(2)
	v_lshrrev_b32_e32 v25, 16, v0
	s_waitcnt lgkmcnt(1)
	v_lshrrev_b32_e32 v27, 16, v32
	s_movk_i32 s0, 0x3aee
	v_lshlrev_b32_e32 v36, 3, v71
	s_waitcnt lgkmcnt(0)
	v_lshrrev_b32_e32 v29, 16, v34
	s_waitcnt vmcnt(3)
	v_mul_f16_sdwa v26, v0, v23 dst_sel:DWORD dst_unused:UNUSED_PAD src0_sel:DWORD src1_sel:WORD_1
	v_mul_f16_sdwa v28, v32, v24 dst_sel:DWORD dst_unused:UNUSED_PAD src0_sel:DWORD src1_sel:WORD_1
	v_fma_f16 v26, v25, v23, v26
	v_fma_f16 v28, v27, v24, v28
	v_mul_f16_sdwa v25, v25, v23 dst_sel:DWORD dst_unused:UNUSED_PAD src0_sel:DWORD src1_sel:WORD_1
	v_add_f16_e32 v30, v29, v26
	v_sub_f16_e32 v63, v26, v28
	v_add_f16_e32 v26, v26, v28
	v_fma_f16 v0, v0, v23, -v25
	v_mul_f16_sdwa v25, v27, v24 dst_sel:DWORD dst_unused:UNUSED_PAD src0_sel:DWORD src1_sel:WORD_1
	v_fma_f16 v64, v26, -0.5, v29
	v_fma_f16 v25, v32, v24, -v25
	v_add_f16_e32 v26, v34, v0
	v_add_f16_e32 v26, v26, v25
	v_add_f16_e32 v27, v0, v25
	v_sub_f16_e32 v0, v0, v25
	v_lshrrev_b32_e32 v25, 3, v111
	v_add_f16_e32 v30, v30, v28
	v_mul_u32_u24_e32 v25, 24, v25
	v_fma_f16 v34, v27, -0.5, v34
	v_or_b32_e32 v9, v25, v9
	v_pack_b32_f16 v66, v26, v30
	v_fma_f16 v25, v63, s0, v34
	v_fma_f16 v26, v0, s1, v64
	v_pack_b32_f16 v67, v25, v26
	v_lshlrev_b32_e32 v25, 3, v68
	v_lshlrev_b32_e32 v26, 3, v69
	;; [unrolled: 1-line block ×3, first 2 shown]
	global_load_dwordx2 v[31:32], v25, s[14:15] offset:24
	global_load_dwordx2 v[29:30], v26, s[14:15] offset:24
	s_nop 0
	global_load_dwordx2 v[27:28], v27, s[14:15] offset:24
	s_nop 0
	global_load_dwordx2 v[25:26], v36, s[14:15] offset:24
	v_lshlrev_b32_e32 v121, 2, v9
	v_lshrrev_b32_e32 v9, 16, v1
	ds_read2_b32 v[36:37], v87 offset0:126 offset1:189
	ds_read2_b32 v[38:39], v12 offset0:118 offset1:181
	;; [unrolled: 1-line block ×9, first 2 shown]
	s_waitcnt lgkmcnt(0)
	; wave barrier
	s_waitcnt lgkmcnt(0)
	ds_write2_b32 v121, v66, v67 offset1:8
	s_waitcnt vmcnt(6)
	v_mul_f16_sdwa v66, v9, v19 dst_sel:DWORD dst_unused:UNUSED_PAD src0_sel:DWORD src1_sel:WORD_1
	v_fma_f16 v66, v1, v19, -v66
	v_mul_f16_sdwa v1, v1, v19 dst_sel:DWORD dst_unused:UNUSED_PAD src0_sel:DWORD src1_sel:WORD_1
	v_fma_f16 v1, v9, v19, v1
	v_lshrrev_b32_e32 v9, 16, v33
	v_mul_f16_sdwa v67, v9, v20 dst_sel:DWORD dst_unused:UNUSED_PAD src0_sel:DWORD src1_sel:WORD_1
	v_fma_f16 v67, v33, v20, -v67
	v_mul_f16_sdwa v33, v33, v20 dst_sel:DWORD dst_unused:UNUSED_PAD src0_sel:DWORD src1_sel:WORD_1
	v_fma_f16 v9, v9, v20, v33
	v_fma_f16 v33, v63, s1, v34
	;; [unrolled: 1-line block ×3, first 2 shown]
	v_add_f16_e32 v34, v66, v67
	v_lshrrev_b32_e32 v63, 16, v35
	v_pack_b32_f16 v0, v33, v0
	v_fma_f16 v34, v34, -0.5, v35
	v_add_f16_e32 v35, v35, v66
	v_add_f16_e32 v64, v63, v1
	v_sub_f16_e32 v72, v1, v9
	v_add_f16_e32 v1, v1, v9
	ds_write_b32 v121, v0 offset:64
	v_lshrrev_b32_e32 v0, 3, v2
	v_add_f16_e32 v64, v64, v9
	v_fma_f16 v1, v1, -0.5, v63
	v_add_f16_e32 v9, v35, v67
	v_sub_f16_e32 v35, v66, v67
	v_mul_u32_u24_e32 v0, 24, v0
	v_or_b32_e32 v0, v0, v50
	v_fma_f16 v33, v72, s0, v34
	v_fma_f16 v50, v35, s1, v1
	v_pack_b32_f16 v9, v9, v64
	v_pack_b32_f16 v33, v33, v50
	v_lshlrev_b32_e32 v133, 2, v0
	ds_write2_b32 v133, v9, v33 offset1:8
	v_fma_f16 v0, v72, s1, v34
	v_fma_f16 v1, v35, s0, v1
	v_lshrrev_b32_e32 v9, 16, v38
	s_waitcnt vmcnt(5)
	v_mul_f16_sdwa v33, v38, v21 dst_sel:DWORD dst_unused:UNUSED_PAD src0_sel:DWORD src1_sel:WORD_1
	v_lshrrev_b32_e32 v34, 16, v40
	v_mul_f16_sdwa v35, v40, v22 dst_sel:DWORD dst_unused:UNUSED_PAD src0_sel:DWORD src1_sel:WORD_1
	v_fma_f16 v33, v9, v21, v33
	v_fma_f16 v35, v34, v22, v35
	v_lshrrev_b32_e32 v50, 16, v36
	v_mul_f16_sdwa v9, v9, v21 dst_sel:DWORD dst_unused:UNUSED_PAD src0_sel:DWORD src1_sel:WORD_1
	v_mul_f16_sdwa v34, v34, v22 dst_sel:DWORD dst_unused:UNUSED_PAD src0_sel:DWORD src1_sel:WORD_1
	v_add_f16_e32 v63, v50, v33
	v_fma_f16 v9, v38, v21, -v9
	v_fma_f16 v34, v40, v22, -v34
	v_pack_b32_f16 v0, v0, v1
	v_add_f16_e32 v63, v63, v35
	v_sub_f16_e32 v64, v33, v35
	v_add_f16_e32 v33, v33, v35
	v_add_f16_e32 v35, v36, v9
	;; [unrolled: 1-line block ×3, first 2 shown]
	ds_write_b32 v133, v0 offset:64
	v_lshrrev_b32_e32 v0, 3, v14
	v_fma_f16 v33, v33, -0.5, v50
	v_add_f16_e32 v35, v35, v34
	v_sub_f16_e32 v9, v9, v34
	v_mul_u32_u24_e32 v0, 24, v0
	v_fma_f16 v34, v38, -0.5, v36
	v_or_b32_e32 v0, v0, v61
	v_pack_b32_f16 v1, v35, v63
	v_fma_f16 v35, v64, s0, v34
	v_fma_f16 v36, v9, s1, v33
	v_pack_b32_f16 v35, v35, v36
	v_lshlrev_b32_e32 v147, 2, v0
	ds_write2_b32 v147, v1, v35 offset1:8
	v_lshrrev_b32_e32 v0, 16, v39
	s_waitcnt vmcnt(4)
	v_mul_f16_sdwa v35, v39, v17 dst_sel:DWORD dst_unused:UNUSED_PAD src0_sel:DWORD src1_sel:WORD_1
	v_mul_f16_sdwa v1, v0, v17 dst_sel:DWORD dst_unused:UNUSED_PAD src0_sel:DWORD src1_sel:WORD_1
	v_fma_f16 v0, v0, v17, v35
	v_lshrrev_b32_e32 v35, 16, v41
	v_mul_f16_sdwa v36, v35, v18 dst_sel:DWORD dst_unused:UNUSED_PAD src0_sel:DWORD src1_sel:WORD_1
	v_fma_f16 v1, v39, v17, -v1
	v_fma_f16 v36, v41, v18, -v36
	v_mul_f16_sdwa v38, v41, v18 dst_sel:DWORD dst_unused:UNUSED_PAD src0_sel:DWORD src1_sel:WORD_1
	v_fma_f16 v34, v64, s1, v34
	v_fma_f16 v9, v9, s0, v33
	;; [unrolled: 1-line block ×3, first 2 shown]
	v_add_f16_e32 v33, v1, v36
	v_lshrrev_b32_e32 v38, 16, v37
	v_pack_b32_f16 v9, v34, v9
	v_fma_f16 v33, v33, -0.5, v37
	v_add_f16_e32 v37, v37, v1
	v_add_f16_e32 v39, v38, v0
	v_sub_f16_e32 v40, v0, v35
	v_add_f16_e32 v0, v0, v35
	ds_write_b32 v147, v9 offset:64
	v_lshrrev_b32_e32 v9, 3, v115
	v_add_f16_e32 v39, v39, v35
	v_fma_f16 v0, v0, -0.5, v38
	v_add_f16_e32 v35, v37, v36
	v_sub_f16_e32 v1, v1, v36
	v_mul_u32_u24_e32 v9, 24, v9
	v_or_b32_e32 v9, v9, v62
	v_pack_b32_f16 v34, v35, v39
	v_fma_f16 v35, v40, s0, v33
	v_fma_f16 v36, v1, s1, v0
	v_pack_b32_f16 v35, v35, v36
	v_lshlrev_b32_e32 v165, 2, v9
	ds_write2_b32 v165, v34, v35 offset1:8
	v_fma_f16 v9, v40, s1, v33
	v_fma_f16 v0, v1, s0, v0
	v_lshrrev_b32_e32 v1, 16, v44
	s_waitcnt vmcnt(3)
	v_mul_f16_sdwa v33, v44, v31 dst_sel:DWORD dst_unused:UNUSED_PAD src0_sel:DWORD src1_sel:WORD_1
	v_lshrrev_b32_e32 v34, 16, v46
	v_mul_f16_sdwa v35, v46, v32 dst_sel:DWORD dst_unused:UNUSED_PAD src0_sel:DWORD src1_sel:WORD_1
	v_fma_f16 v33, v1, v31, v33
	v_fma_f16 v35, v34, v32, v35
	v_lshrrev_b32_e32 v36, 16, v42
	v_mul_f16_sdwa v1, v1, v31 dst_sel:DWORD dst_unused:UNUSED_PAD src0_sel:DWORD src1_sel:WORD_1
	v_mul_f16_sdwa v34, v34, v32 dst_sel:DWORD dst_unused:UNUSED_PAD src0_sel:DWORD src1_sel:WORD_1
	v_add_f16_e32 v37, v36, v33
	v_sub_f16_e32 v38, v33, v35
	v_add_f16_e32 v33, v33, v35
	v_fma_f16 v1, v44, v31, -v1
	v_fma_f16 v34, v46, v32, -v34
	v_pack_b32_f16 v0, v9, v0
	v_add_f16_e32 v37, v37, v35
	v_fma_f16 v33, v33, -0.5, v36
	v_add_f16_e32 v35, v42, v1
	v_add_f16_e32 v36, v1, v34
	ds_write_b32 v165, v0 offset:64
	v_lshrrev_b32_e32 v0, 3, v51
	v_add_f16_e32 v35, v35, v34
	v_sub_f16_e32 v1, v1, v34
	v_mul_u32_u24_e32 v0, 24, v0
	v_fma_f16 v34, v36, -0.5, v42
	v_or_b32_e32 v0, v0, v68
	v_pack_b32_f16 v9, v35, v37
	v_fma_f16 v35, v38, s0, v34
	v_fma_f16 v36, v1, s1, v33
	v_pack_b32_f16 v35, v35, v36
	v_lshlrev_b32_e32 v176, 2, v0
	ds_write2_b32 v176, v9, v35 offset1:8
	v_lshrrev_b32_e32 v0, 16, v45
	s_waitcnt vmcnt(2)
	v_mul_f16_sdwa v35, v45, v29 dst_sel:DWORD dst_unused:UNUSED_PAD src0_sel:DWORD src1_sel:WORD_1
	v_mul_f16_sdwa v9, v0, v29 dst_sel:DWORD dst_unused:UNUSED_PAD src0_sel:DWORD src1_sel:WORD_1
	v_fma_f16 v0, v0, v29, v35
	v_lshrrev_b32_e32 v35, 16, v47
	v_mul_f16_sdwa v36, v35, v30 dst_sel:DWORD dst_unused:UNUSED_PAD src0_sel:DWORD src1_sel:WORD_1
	v_mul_f16_sdwa v37, v47, v30 dst_sel:DWORD dst_unused:UNUSED_PAD src0_sel:DWORD src1_sel:WORD_1
	v_fma_f16 v34, v38, s1, v34
	v_fma_f16 v1, v1, s0, v33
	v_fma_f16 v9, v45, v29, -v9
	v_fma_f16 v36, v47, v30, -v36
	v_fma_f16 v35, v35, v30, v37
	v_lshrrev_b32_e32 v37, 16, v43
	v_pack_b32_f16 v1, v34, v1
	v_add_f16_e32 v33, v9, v36
	v_add_f16_e32 v38, v43, v9
	;; [unrolled: 1-line block ×3, first 2 shown]
	v_sub_f16_e32 v40, v0, v35
	v_add_f16_e32 v0, v0, v35
	ds_write_b32 v176, v1 offset:64
	v_lshrrev_b32_e32 v1, 3, v52
	v_fma_f16 v33, v33, -0.5, v43
	v_add_f16_e32 v39, v39, v35
	v_fma_f16 v0, v0, -0.5, v37
	v_add_f16_e32 v35, v38, v36
	v_sub_f16_e32 v9, v9, v36
	v_mul_u32_u24_e32 v1, 24, v1
	v_or_b32_e32 v1, v1, v69
	v_pack_b32_f16 v34, v35, v39
	v_fma_f16 v35, v40, s0, v33
	v_fma_f16 v36, v9, s1, v0
	v_pack_b32_f16 v35, v35, v36
	v_lshlrev_b32_e32 v181, 2, v1
	ds_write2_b32 v181, v34, v35 offset1:8
	v_fma_f16 v1, v40, s1, v33
	v_fma_f16 v0, v9, s0, v0
	v_lshrrev_b32_e32 v9, 16, v57
	s_waitcnt vmcnt(1)
	v_mul_f16_sdwa v33, v57, v27 dst_sel:DWORD dst_unused:UNUSED_PAD src0_sel:DWORD src1_sel:WORD_1
	v_lshrrev_b32_e32 v34, 16, v59
	v_mul_f16_sdwa v35, v59, v28 dst_sel:DWORD dst_unused:UNUSED_PAD src0_sel:DWORD src1_sel:WORD_1
	v_fma_f16 v33, v9, v27, v33
	v_fma_f16 v35, v34, v28, v35
	v_lshrrev_b32_e32 v36, 16, v48
	v_mul_f16_sdwa v9, v9, v27 dst_sel:DWORD dst_unused:UNUSED_PAD src0_sel:DWORD src1_sel:WORD_1
	v_mul_f16_sdwa v34, v34, v28 dst_sel:DWORD dst_unused:UNUSED_PAD src0_sel:DWORD src1_sel:WORD_1
	v_add_f16_e32 v37, v36, v33
	v_sub_f16_e32 v38, v33, v35
	v_add_f16_e32 v33, v33, v35
	v_fma_f16 v9, v57, v27, -v9
	v_fma_f16 v34, v59, v28, -v34
	v_pack_b32_f16 v0, v1, v0
	v_add_f16_e32 v37, v37, v35
	v_fma_f16 v33, v33, -0.5, v36
	v_add_f16_e32 v35, v48, v9
	v_add_f16_e32 v36, v9, v34
	ds_write_b32 v181, v0 offset:64
	v_lshrrev_b32_e32 v0, 3, v54
	v_add_f16_e32 v35, v35, v34
	v_sub_f16_e32 v9, v9, v34
	v_mul_u32_u24_e32 v0, 24, v0
	v_fma_f16 v34, v36, -0.5, v48
	v_or_b32_e32 v0, v0, v70
	v_pack_b32_f16 v1, v35, v37
	v_fma_f16 v35, v38, s0, v34
	v_fma_f16 v36, v9, s1, v33
	v_pack_b32_f16 v35, v35, v36
	v_lshlrev_b32_e32 v185, 2, v0
	ds_write2_b32 v185, v1, v35 offset1:8
	v_lshrrev_b32_e32 v0, 16, v58
	s_waitcnt vmcnt(0)
	v_mul_f16_sdwa v35, v58, v25 dst_sel:DWORD dst_unused:UNUSED_PAD src0_sel:DWORD src1_sel:WORD_1
	v_mul_f16_sdwa v1, v0, v25 dst_sel:DWORD dst_unused:UNUSED_PAD src0_sel:DWORD src1_sel:WORD_1
	v_fma_f16 v0, v0, v25, v35
	v_lshrrev_b32_e32 v35, 16, v60
	v_fma_f16 v34, v38, s1, v34
	v_fma_f16 v9, v9, s0, v33
	v_mul_f16_sdwa v36, v35, v26 dst_sel:DWORD dst_unused:UNUSED_PAD src0_sel:DWORD src1_sel:WORD_1
	v_mul_f16_sdwa v37, v60, v26 dst_sel:DWORD dst_unused:UNUSED_PAD src0_sel:DWORD src1_sel:WORD_1
	v_pack_b32_f16 v9, v34, v9
	v_fma_f16 v1, v58, v25, -v1
	v_fma_f16 v36, v60, v26, -v36
	v_fma_f16 v35, v35, v26, v37
	v_lshrrev_b32_e32 v37, 16, v49
	ds_write_b32 v185, v9 offset:64
	v_lshrrev_b32_e32 v9, 3, v55
	v_add_f16_e32 v33, v1, v36
	v_add_f16_e32 v39, v37, v0
	v_sub_f16_e32 v40, v0, v35
	v_add_f16_e32 v0, v0, v35
	v_mul_u32_u24_e32 v9, 24, v9
	v_fma_f16 v33, v33, -0.5, v49
	v_add_f16_e32 v38, v49, v1
	v_fma_f16 v0, v0, -0.5, v37
	v_sub_f16_e32 v1, v1, v36
	v_or_b32_e32 v9, v9, v71
	v_add_f16_e32 v39, v39, v35
	v_add_f16_e32 v35, v38, v36
	v_fma_f16 v36, v1, s1, v0
	v_lshlrev_b32_e32 v188, 2, v9
	v_fma_f16 v9, v40, s1, v33
	v_fma_f16 v0, v1, s0, v0
	v_pack_b32_f16 v0, v9, v0
	ds_write_b32 v188, v0 offset:64
	v_mul_lo_u16_sdwa v0, v111, s2 dst_sel:DWORD dst_unused:UNUSED_PAD src0_sel:BYTE_0 src1_sel:DWORD
	v_lshrrev_b16_e32 v9, 12, v0
	v_mul_lo_u16_e32 v0, 24, v9
	v_sub_u16_e32 v0, v111, v0
	v_pack_b32_f16 v34, v35, v39
	v_fma_f16 v35, v40, s0, v33
	v_and_b32_e32 v41, 0xff, v0
	v_pack_b32_f16 v35, v35, v36
	v_lshlrev_b32_e32 v0, 3, v41
	ds_write2_b32 v188, v34, v35 offset1:8
	s_waitcnt lgkmcnt(0)
	; wave barrier
	s_waitcnt lgkmcnt(0)
	global_load_dwordx2 v[33:34], v0, s[14:15] offset:88
	v_mul_lo_u16_sdwa v35, v2, s2 dst_sel:DWORD dst_unused:UNUSED_PAD src0_sel:BYTE_0 src1_sel:DWORD
	v_lshrrev_b16_e32 v50, 12, v35
	v_mul_lo_u16_e32 v35, 24, v50
	v_sub_u16_e32 v35, v2, v35
	v_and_b32_e32 v78, 0xff, v35
	v_mul_lo_u16_sdwa v35, v14, s2 dst_sel:DWORD dst_unused:UNUSED_PAD src0_sel:BYTE_0 src1_sel:DWORD
	v_lshrrev_b16_e32 v79, 12, v35
	v_mul_lo_u16_e32 v35, 24, v79
	v_sub_u16_e32 v35, v14, v35
	v_and_b32_e32 v80, 0xff, v35
	;; [unrolled: 5-line block ×3, first 2 shown]
	v_lshlrev_b32_e32 v35, 3, v78
	v_lshlrev_b32_e32 v36, 3, v80
	ds_read2_b32 v[0:1], v53 offset0:120 offset1:183
	ds_read2_b32 v[48:49], v6 offset0:112 offset1:175
	v_lshlrev_b32_e32 v43, 3, v82
	global_load_dwordx2 v[39:40], v35, s[14:15] offset:88
	global_load_dwordx2 v[37:38], v36, s[14:15] offset:88
	s_nop 0
	global_load_dwordx2 v[35:36], v43, s[14:15] offset:88
	ds_read2_b32 v[57:58], v87 offset1:63
	s_waitcnt lgkmcnt(2)
	v_lshrrev_b32_e32 v42, 16, v0
	s_waitcnt lgkmcnt(1)
	v_lshrrev_b32_e32 v44, 16, v48
	s_mov_b32 s2, 0xaaab
	s_waitcnt lgkmcnt(0)
	v_lshrrev_b32_e32 v46, 16, v57
	s_waitcnt vmcnt(3)
	v_mul_f16_sdwa v43, v0, v33 dst_sel:DWORD dst_unused:UNUSED_PAD src0_sel:DWORD src1_sel:WORD_1
	v_fma_f16 v43, v42, v33, v43
	v_mul_f16_sdwa v45, v48, v34 dst_sel:DWORD dst_unused:UNUSED_PAD src0_sel:DWORD src1_sel:WORD_1
	v_mul_f16_sdwa v42, v42, v33 dst_sel:DWORD dst_unused:UNUSED_PAD src0_sel:DWORD src1_sel:WORD_1
	v_fma_f16 v45, v44, v34, v45
	v_fma_f16 v0, v0, v33, -v42
	v_mul_f16_sdwa v42, v44, v34 dst_sel:DWORD dst_unused:UNUSED_PAD src0_sel:DWORD src1_sel:WORD_1
	v_add_f16_e32 v47, v46, v43
	v_sub_f16_e32 v83, v43, v45
	v_add_f16_e32 v43, v43, v45
	v_fma_f16 v42, v48, v34, -v42
	v_fma_f16 v84, v43, -0.5, v46
	v_add_f16_e32 v43, v57, v0
	v_add_f16_e32 v44, v0, v42
	v_sub_f16_e32 v85, v0, v42
	v_mul_lo_u16_e32 v0, 0x48, v9
	v_and_b32_e32 v0, 0xf8, v0
	v_fma_f16 v57, v44, -0.5, v57
	v_add_lshl_u32 v125, v0, v41, 2
	v_fma_f16 v0, v83, s0, v57
	v_fma_f16 v41, v85, s1, v84
	v_pack_b32_f16 v86, v0, v41
	v_mul_u32_u24_sdwa v0, v51, s2 dst_sel:DWORD dst_unused:UNUSED_PAD src0_sel:WORD_0 src1_sel:DWORD
	v_add_f16_e32 v47, v47, v45
	v_add_f16_e32 v43, v43, v42
	v_lshrrev_b32_e32 v184, 20, v0
	v_pack_b32_f16 v9, v43, v47
	v_mul_lo_u16_e32 v0, 24, v184
	v_mul_u32_u24_sdwa v43, v52, s2 dst_sel:DWORD dst_unused:UNUSED_PAD src0_sel:WORD_0 src1_sel:DWORD
	v_sub_u16_e32 v187, v51, v0
	v_lshrrev_b32_e32 v189, 20, v43
	v_lshlrev_b16_e32 v41, 3, v187
	v_mul_lo_u16_e32 v43, 24, v189
	v_mul_u32_u24_sdwa v45, v54, s2 dst_sel:DWORD dst_unused:UNUSED_PAD src0_sel:WORD_0 src1_sel:DWORD
	v_mov_b32_e32 v0, s15
	v_add_co_u32_e32 v41, vcc, s14, v41
	v_sub_u16_e32 v190, v52, v43
	v_lshrrev_b32_e32 v191, 20, v45
	v_addc_co_u32_e32 v42, vcc, 0, v0, vcc
	v_lshlrev_b16_e32 v43, 3, v190
	v_mul_lo_u16_e32 v45, 24, v191
	v_add_co_u32_e32 v43, vcc, s14, v43
	v_sub_u16_e32 v192, v54, v45
	v_addc_co_u32_e32 v44, vcc, 0, v0, vcc
	v_lshlrev_b16_e32 v45, 3, v192
	v_add_co_u32_e32 v59, vcc, s14, v45
	v_mul_u32_u24_sdwa v45, v55, s2 dst_sel:DWORD dst_unused:UNUSED_PAD src0_sel:WORD_0 src1_sel:DWORD
	v_lshrrev_b32_e32 v193, 20, v45
	v_mul_lo_u16_e32 v45, 24, v193
	v_sub_u16_e32 v194, v55, v45
	v_addc_co_u32_e32 v60, vcc, 0, v0, vcc
	v_lshlrev_b16_e32 v45, 3, v194
	v_add_co_u32_e32 v61, vcc, s14, v45
	v_addc_co_u32_e32 v62, vcc, 0, v0, vcc
	global_load_dwordx2 v[47:48], v[41:42], off offset:88
	global_load_dwordx2 v[45:46], v[43:44], off offset:88
	s_nop 0
	global_load_dwordx2 v[43:44], v[59:60], off offset:88
	global_load_dwordx2 v[41:42], v[61:62], off offset:88
	ds_read2_b32 v[59:60], v87 offset0:126 offset1:189
	ds_read2_b32 v[61:62], v12 offset0:118 offset1:181
	;; [unrolled: 1-line block ×9, first 2 shown]
	s_waitcnt lgkmcnt(0)
	; wave barrier
	s_waitcnt lgkmcnt(0)
	ds_write2_b32 v125, v9, v86 offset1:24
	v_lshrrev_b32_e32 v9, 16, v1
	s_waitcnt vmcnt(6)
	v_mul_f16_sdwa v86, v9, v39 dst_sel:DWORD dst_unused:UNUSED_PAD src0_sel:DWORD src1_sel:WORD_1
	v_fma_f16 v86, v1, v39, -v86
	v_mul_f16_sdwa v1, v1, v39 dst_sel:DWORD dst_unused:UNUSED_PAD src0_sel:DWORD src1_sel:WORD_1
	v_fma_f16 v1, v9, v39, v1
	v_lshrrev_b32_e32 v9, 16, v49
	v_mul_f16_sdwa v166, v9, v40 dst_sel:DWORD dst_unused:UNUSED_PAD src0_sel:DWORD src1_sel:WORD_1
	v_fma_f16 v166, v49, v40, -v166
	v_mul_f16_sdwa v49, v49, v40 dst_sel:DWORD dst_unused:UNUSED_PAD src0_sel:DWORD src1_sel:WORD_1
	v_fma_f16 v9, v9, v40, v49
	v_fma_f16 v49, v83, s1, v57
	;; [unrolled: 1-line block ×3, first 2 shown]
	v_add_f16_e32 v83, v86, v166
	v_lshrrev_b32_e32 v84, 16, v58
	v_fma_f16 v83, v83, -0.5, v58
	v_add_f16_e32 v58, v58, v86
	v_add_f16_e32 v85, v84, v1
	v_sub_f16_e32 v173, v1, v9
	v_add_f16_e32 v1, v1, v9
	v_pack_b32_f16 v49, v49, v57
	v_add_f16_e32 v85, v85, v9
	v_fma_f16 v1, v1, -0.5, v84
	v_add_f16_e32 v9, v58, v166
	v_sub_f16_e32 v58, v86, v166
	ds_write_b32 v125, v49 offset:192
	v_mul_u32_u24_e32 v49, 0x48, v50
	v_add_lshl_u32 v166, v49, v78, 2
	v_fma_f16 v49, v173, s0, v83
	v_fma_f16 v50, v58, s1, v1
	v_pack_b32_f16 v9, v9, v85
	v_pack_b32_f16 v49, v49, v50
	ds_write2_b32 v166, v9, v49 offset1:24
	v_fma_f16 v1, v58, s0, v1
	v_lshrrev_b32_e32 v49, 16, v61
	s_waitcnt vmcnt(5)
	v_mul_f16_sdwa v50, v61, v37 dst_sel:DWORD dst_unused:UNUSED_PAD src0_sel:DWORD src1_sel:WORD_1
	v_lshrrev_b32_e32 v57, 16, v63
	v_mul_f16_sdwa v58, v63, v38 dst_sel:DWORD dst_unused:UNUSED_PAD src0_sel:DWORD src1_sel:WORD_1
	v_fma_f16 v50, v49, v37, v50
	v_fma_f16 v58, v57, v38, v58
	v_lshrrev_b32_e32 v78, 16, v59
	v_mul_f16_sdwa v49, v49, v37 dst_sel:DWORD dst_unused:UNUSED_PAD src0_sel:DWORD src1_sel:WORD_1
	v_mul_f16_sdwa v57, v57, v38 dst_sel:DWORD dst_unused:UNUSED_PAD src0_sel:DWORD src1_sel:WORD_1
	v_fma_f16 v9, v173, s1, v83
	v_add_f16_e32 v83, v78, v50
	v_fma_f16 v49, v61, v37, -v49
	v_fma_f16 v57, v63, v38, -v57
	v_add_f16_e32 v83, v83, v58
	v_sub_f16_e32 v84, v50, v58
	v_add_f16_e32 v50, v50, v58
	v_add_f16_e32 v58, v59, v49
	;; [unrolled: 1-line block ×3, first 2 shown]
	v_pack_b32_f16 v1, v9, v1
	v_fma_f16 v50, v50, -0.5, v78
	v_add_f16_e32 v58, v58, v57
	v_sub_f16_e32 v49, v49, v57
	ds_write_b32 v166, v1 offset:192
	v_mul_u32_u24_e32 v1, 0x48, v79
	v_fma_f16 v9, v61, -0.5, v59
	v_add_lshl_u32 v173, v1, v80, 2
	v_pack_b32_f16 v1, v58, v83
	v_fma_f16 v57, v84, s0, v9
	v_fma_f16 v58, v49, s1, v50
	v_pack_b32_f16 v57, v57, v58
	ds_write2_b32 v173, v1, v57 offset1:24
	v_lshrrev_b32_e32 v1, 16, v62
	s_waitcnt vmcnt(4)
	v_mul_f16_sdwa v58, v62, v35 dst_sel:DWORD dst_unused:UNUSED_PAD src0_sel:DWORD src1_sel:WORD_1
	v_mul_f16_sdwa v57, v1, v35 dst_sel:DWORD dst_unused:UNUSED_PAD src0_sel:DWORD src1_sel:WORD_1
	v_fma_f16 v1, v1, v35, v58
	v_lshrrev_b32_e32 v58, 16, v64
	v_mul_f16_sdwa v59, v58, v36 dst_sel:DWORD dst_unused:UNUSED_PAD src0_sel:DWORD src1_sel:WORD_1
	v_fma_f16 v57, v62, v35, -v57
	v_fma_f16 v59, v64, v36, -v59
	v_mul_f16_sdwa v61, v64, v36 dst_sel:DWORD dst_unused:UNUSED_PAD src0_sel:DWORD src1_sel:WORD_1
	v_fma_f16 v58, v58, v36, v61
	v_fma_f16 v9, v84, s1, v9
	;; [unrolled: 1-line block ×3, first 2 shown]
	v_add_f16_e32 v50, v57, v59
	v_lshrrev_b32_e32 v61, 16, v60
	v_fma_f16 v50, v50, -0.5, v60
	v_add_f16_e32 v60, v60, v57
	v_add_f16_e32 v62, v61, v1
	v_sub_f16_e32 v63, v1, v58
	v_add_f16_e32 v1, v1, v58
	v_pack_b32_f16 v9, v9, v49
	v_add_f16_e32 v62, v62, v58
	v_fma_f16 v1, v1, -0.5, v61
	v_add_f16_e32 v58, v60, v59
	v_sub_f16_e32 v57, v57, v59
	ds_write_b32 v173, v9 offset:192
	v_mul_u32_u24_e32 v9, 0x48, v81
	v_add_lshl_u32 v180, v9, v82, 2
	v_pack_b32_f16 v9, v58, v62
	v_fma_f16 v49, v63, s0, v50
	v_fma_f16 v58, v57, s1, v1
	v_pack_b32_f16 v49, v49, v58
	ds_write2_b32 v180, v9, v49 offset1:24
	v_fma_f16 v9, v63, s1, v50
	v_fma_f16 v1, v57, s0, v1
	v_lshrrev_b32_e32 v49, 16, v68
	s_waitcnt vmcnt(3)
	v_mul_f16_sdwa v50, v68, v47 dst_sel:DWORD dst_unused:UNUSED_PAD src0_sel:DWORD src1_sel:WORD_1
	v_lshrrev_b32_e32 v57, 16, v70
	v_mul_f16_sdwa v58, v70, v48 dst_sel:DWORD dst_unused:UNUSED_PAD src0_sel:DWORD src1_sel:WORD_1
	v_fma_f16 v50, v49, v47, v50
	v_fma_f16 v58, v57, v48, v58
	v_lshrrev_b32_e32 v59, 16, v66
	v_mul_f16_sdwa v49, v49, v47 dst_sel:DWORD dst_unused:UNUSED_PAD src0_sel:DWORD src1_sel:WORD_1
	v_mul_f16_sdwa v57, v57, v48 dst_sel:DWORD dst_unused:UNUSED_PAD src0_sel:DWORD src1_sel:WORD_1
	v_add_f16_e32 v60, v59, v50
	v_sub_f16_e32 v61, v50, v58
	v_add_f16_e32 v50, v50, v58
	v_fma_f16 v49, v68, v47, -v49
	v_fma_f16 v57, v70, v48, -v57
	v_add_f16_e32 v60, v60, v58
	v_fma_f16 v50, v50, -0.5, v59
	v_add_f16_e32 v58, v66, v49
	v_add_f16_e32 v59, v49, v57
	;; [unrolled: 1-line block ×3, first 2 shown]
	v_sub_f16_e32 v49, v49, v57
	v_pack_b32_f16 v1, v9, v1
	s_movk_i32 s2, 0x48
	v_fma_f16 v57, v59, -0.5, v66
	ds_write_b32 v180, v1 offset:192
	v_mad_legacy_u16 v1, v184, s2, v187
	v_pack_b32_f16 v9, v58, v60
	v_fma_f16 v58, v61, s0, v57
	v_fma_f16 v59, v49, s1, v50
	v_pack_b32_f16 v58, v58, v59
	v_lshlrev_b32_e32 v184, 2, v1
	ds_write2_b32 v184, v9, v58 offset1:24
	v_lshrrev_b32_e32 v1, 16, v69
	s_waitcnt vmcnt(2)
	v_mul_f16_sdwa v58, v69, v45 dst_sel:DWORD dst_unused:UNUSED_PAD src0_sel:DWORD src1_sel:WORD_1
	v_mul_f16_sdwa v9, v1, v45 dst_sel:DWORD dst_unused:UNUSED_PAD src0_sel:DWORD src1_sel:WORD_1
	v_fma_f16 v1, v1, v45, v58
	v_lshrrev_b32_e32 v58, 16, v71
	v_mul_f16_sdwa v59, v58, v46 dst_sel:DWORD dst_unused:UNUSED_PAD src0_sel:DWORD src1_sel:WORD_1
	v_mul_f16_sdwa v60, v71, v46 dst_sel:DWORD dst_unused:UNUSED_PAD src0_sel:DWORD src1_sel:WORD_1
	v_fma_f16 v9, v69, v45, -v9
	v_fma_f16 v59, v71, v46, -v59
	v_fma_f16 v58, v58, v46, v60
	v_lshrrev_b32_e32 v60, 16, v67
	v_fma_f16 v57, v61, s1, v57
	v_fma_f16 v49, v49, s0, v50
	v_add_f16_e32 v50, v9, v59
	v_add_f16_e32 v61, v67, v9
	;; [unrolled: 1-line block ×3, first 2 shown]
	v_sub_f16_e32 v63, v1, v58
	v_add_f16_e32 v1, v1, v58
	v_fma_f16 v50, v50, -0.5, v67
	v_add_f16_e32 v62, v62, v58
	v_fma_f16 v1, v1, -0.5, v60
	v_add_f16_e32 v58, v61, v59
	v_sub_f16_e32 v9, v9, v59
	v_pack_b32_f16 v49, v57, v49
	ds_write_b32 v184, v49 offset:192
	v_mad_legacy_u16 v49, v189, s2, v190
	v_pack_b32_f16 v57, v58, v62
	v_fma_f16 v58, v63, s0, v50
	v_fma_f16 v59, v9, s1, v1
	v_pack_b32_f16 v58, v58, v59
	v_lshlrev_b32_e32 v187, 2, v49
	ds_write2_b32 v187, v57, v58 offset1:24
	v_fma_f16 v49, v63, s1, v50
	v_fma_f16 v1, v9, s0, v1
	v_lshrrev_b32_e32 v9, 16, v74
	s_waitcnt vmcnt(1)
	v_mul_f16_sdwa v50, v74, v43 dst_sel:DWORD dst_unused:UNUSED_PAD src0_sel:DWORD src1_sel:WORD_1
	v_lshrrev_b32_e32 v57, 16, v76
	v_mul_f16_sdwa v58, v76, v44 dst_sel:DWORD dst_unused:UNUSED_PAD src0_sel:DWORD src1_sel:WORD_1
	v_fma_f16 v50, v9, v43, v50
	v_fma_f16 v58, v57, v44, v58
	v_lshrrev_b32_e32 v59, 16, v72
	v_mul_f16_sdwa v9, v9, v43 dst_sel:DWORD dst_unused:UNUSED_PAD src0_sel:DWORD src1_sel:WORD_1
	v_mul_f16_sdwa v57, v57, v44 dst_sel:DWORD dst_unused:UNUSED_PAD src0_sel:DWORD src1_sel:WORD_1
	v_add_f16_e32 v60, v59, v50
	v_sub_f16_e32 v61, v50, v58
	v_add_f16_e32 v50, v50, v58
	v_fma_f16 v9, v74, v43, -v9
	v_fma_f16 v57, v76, v44, -v57
	v_add_f16_e32 v60, v60, v58
	v_fma_f16 v50, v50, -0.5, v59
	v_add_f16_e32 v58, v72, v9
	v_add_f16_e32 v59, v9, v57
	v_add_f16_e32 v58, v58, v57
	v_sub_f16_e32 v9, v9, v57
	v_pack_b32_f16 v1, v49, v1
	v_fma_f16 v57, v59, -0.5, v72
	ds_write_b32 v187, v1 offset:192
	v_mad_legacy_u16 v1, v191, s2, v192
	v_pack_b32_f16 v49, v58, v60
	v_fma_f16 v58, v61, s0, v57
	v_fma_f16 v59, v9, s1, v50
	v_pack_b32_f16 v58, v58, v59
	v_lshlrev_b32_e32 v189, 2, v1
	ds_write2_b32 v189, v49, v58 offset1:24
	v_lshrrev_b32_e32 v1, 16, v75
	s_waitcnt vmcnt(0)
	v_mul_f16_sdwa v58, v75, v41 dst_sel:DWORD dst_unused:UNUSED_PAD src0_sel:DWORD src1_sel:WORD_1
	v_mul_f16_sdwa v49, v1, v41 dst_sel:DWORD dst_unused:UNUSED_PAD src0_sel:DWORD src1_sel:WORD_1
	v_fma_f16 v1, v1, v41, v58
	v_lshrrev_b32_e32 v58, 16, v77
	v_mul_f16_sdwa v59, v58, v42 dst_sel:DWORD dst_unused:UNUSED_PAD src0_sel:DWORD src1_sel:WORD_1
	v_mul_f16_sdwa v60, v77, v42 dst_sel:DWORD dst_unused:UNUSED_PAD src0_sel:DWORD src1_sel:WORD_1
	v_fma_f16 v49, v75, v41, -v49
	v_fma_f16 v59, v77, v42, -v59
	v_fma_f16 v58, v58, v42, v60
	v_fma_f16 v57, v61, s1, v57
	;; [unrolled: 1-line block ×3, first 2 shown]
	v_lshrrev_b32_e32 v60, 16, v73
	v_add_f16_e32 v50, v49, v59
	v_add_f16_e32 v61, v73, v49
	;; [unrolled: 1-line block ×3, first 2 shown]
	v_sub_f16_e32 v63, v1, v58
	v_add_f16_e32 v1, v1, v58
	v_pack_b32_f16 v9, v57, v9
	v_fma_f16 v50, v50, -0.5, v73
	v_add_f16_e32 v62, v62, v58
	v_fma_f16 v1, v1, -0.5, v60
	v_add_f16_e32 v58, v61, v59
	v_sub_f16_e32 v49, v49, v59
	ds_write_b32 v189, v9 offset:192
	v_mad_legacy_u16 v9, v193, s2, v194
	v_pack_b32_f16 v57, v58, v62
	v_fma_f16 v58, v63, s0, v50
	v_fma_f16 v59, v49, s1, v1
	v_lshlrev_b32_e32 v190, 2, v9
	v_fma_f16 v9, v63, s1, v50
	v_fma_f16 v1, v49, s0, v1
	v_pack_b32_f16 v58, v58, v59
	v_pack_b32_f16 v1, v9, v1
	ds_write2_b32 v190, v57, v58 offset1:24
	ds_write_b32 v190, v1 offset:192
	s_waitcnt lgkmcnt(0)
	; wave barrier
	s_waitcnt lgkmcnt(0)
	global_load_dwordx2 v[49:50], v113, s[14:15] offset:280
	v_add_co_u32_e32 v1, vcc, -9, v111
	v_addc_co_u32_e64 v9, s[2:3], 0, -1, vcc
	v_cmp_gt_u16_e32 vcc, 9, v111
	v_cndmask_b32_e32 v67, v9, v56, vcc
	v_mov_b32_e32 v9, 57
	v_mul_lo_u16_sdwa v56, v14, v9 dst_sel:DWORD dst_unused:UNUSED_PAD src0_sel:BYTE_0 src1_sel:DWORD
	v_lshrrev_b16_e32 v85, 12, v56
	v_mul_lo_u16_e32 v56, 0x48, v85
	s_mov_b32 s2, 0xe38f
	v_sub_u16_e32 v14, v14, v56
	v_mul_u32_u24_sdwa v56, v51, s2 dst_sel:DWORD dst_unused:UNUSED_PAD src0_sel:WORD_0 src1_sel:DWORD
	v_lshrrev_b32_e32 v86, 22, v56
	v_mul_lo_u16_e32 v56, 0x48, v86
	v_sub_u16_e32 v194, v51, v56
	v_mul_u32_u24_sdwa v51, v52, s2 dst_sel:DWORD dst_unused:UNUSED_PAD src0_sel:WORD_0 src1_sel:DWORD
	v_lshrrev_b32_e32 v195, 22, v51
	v_mul_lo_u16_e32 v51, 0x48, v195
	v_sub_u16_e32 v196, v52, v51
	v_mul_u32_u24_sdwa v51, v54, s2 dst_sel:DWORD dst_unused:UNUSED_PAD src0_sel:WORD_0 src1_sel:DWORD
	v_cndmask_b32_e32 v66, v1, v2, vcc
	v_lshrrev_b32_e32 v197, 22, v51
	v_lshlrev_b64 v[1:2], 3, v[66:67]
	v_mul_lo_u16_e32 v51, 0x48, v197
	v_sub_u16_e32 v198, v54, v51
	v_mul_u32_u24_sdwa v51, v55, s2 dst_sel:DWORD dst_unused:UNUSED_PAD src0_sel:WORD_0 src1_sel:DWORD
	v_add_co_u32_e32 v1, vcc, s14, v1
	v_lshrrev_b32_e32 v51, 22, v51
	v_addc_co_u32_e32 v2, vcc, v0, v2, vcc
	v_mul_lo_u16_e32 v51, 0x48, v51
	v_sub_u16_e32 v199, v55, v51
	global_load_dwordx2 v[51:52], v[1:2], off offset:280
	v_lshlrev_b16_e32 v1, 3, v194
	v_add_co_u32_e32 v1, vcc, s14, v1
	v_addc_co_u32_e32 v2, vcc, 0, v0, vcc
	v_lshlrev_b16_e32 v54, 3, v196
	v_add_co_u32_e32 v54, vcc, s14, v54
	ds_read2_b32 v[67:68], v53 offset0:120 offset1:183
	ds_read2_b32 v[69:70], v6 offset0:112 offset1:175
	v_addc_co_u32_e32 v55, vcc, 0, v0, vcc
	v_lshlrev_b16_e32 v56, 3, v198
	ds_read2_b32 v[71:72], v87 offset1:63
	v_add_co_u32_e32 v61, vcc, s14, v56
	v_addc_co_u32_e32 v62, vcc, 0, v0, vcc
	v_lshlrev_b16_e32 v56, 3, v199
	v_add_co_u32_e32 v63, vcc, s14, v56
	v_and_b32_e32 v192, 0xff, v14
	v_addc_co_u32_e32 v64, vcc, 0, v0, vcc
	s_waitcnt lgkmcnt(2)
	v_lshrrev_b32_e32 v0, 16, v67
	s_waitcnt lgkmcnt(1)
	v_lshrrev_b32_e32 v56, 16, v69
	v_lshlrev_b32_e32 v14, 3, v192
	v_cmp_lt_u16_e32 vcc, 8, v111
	s_movk_i32 s2, 0xd8
	s_waitcnt vmcnt(1)
	v_mul_f16_sdwa v53, v67, v49 dst_sel:DWORD dst_unused:UNUSED_PAD src0_sel:DWORD src1_sel:WORD_1
	v_mul_f16_sdwa v57, v69, v50 dst_sel:DWORD dst_unused:UNUSED_PAD src0_sel:DWORD src1_sel:WORD_1
	v_fma_f16 v53, v0, v49, v53
	v_fma_f16 v59, v56, v50, v57
	global_load_dwordx2 v[57:58], v14, s[14:15] offset:280
	s_waitcnt lgkmcnt(0)
	v_lshrrev_b32_e32 v14, 16, v71
	v_add_f16_e32 v60, v14, v53
	v_sub_f16_e32 v193, v53, v59
	v_add_f16_e32 v53, v53, v59
	v_fma_f16 v200, v53, -0.5, v14
	v_mul_f16_sdwa v0, v0, v49 dst_sel:DWORD dst_unused:UNUSED_PAD src0_sel:DWORD src1_sel:WORD_1
	v_mul_f16_sdwa v14, v56, v50 dst_sel:DWORD dst_unused:UNUSED_PAD src0_sel:DWORD src1_sel:WORD_1
	v_fma_f16 v0, v67, v49, -v0
	v_fma_f16 v14, v69, v50, -v14
	v_add_f16_e32 v56, v0, v14
	v_add_f16_e32 v53, v71, v0
	v_sub_f16_e32 v67, v0, v14
	v_fma_f16 v71, v56, -0.5, v71
	v_add_f16_e32 v53, v53, v14
	v_fma_f16 v0, v193, s0, v71
	v_fma_f16 v14, v67, s1, v200
	v_pack_b32_f16 v191, v0, v14
	v_mul_lo_u16_sdwa v0, v115, v9 dst_sel:DWORD dst_unused:UNUSED_PAD src0_sel:BYTE_0 src1_sel:DWORD
	v_lshrrev_b16_e32 v9, 12, v0
	v_mul_lo_u16_e32 v0, 0x48, v9
	v_sub_u16_e32 v0, v115, v0
	v_add_f16_e32 v60, v60, v59
	v_and_b32_e32 v201, 0xff, v0
	v_pack_b32_f16 v69, v53, v60
	global_load_dwordx2 v[59:60], v[54:55], off offset:280
	s_nop 0
	global_load_dwordx2 v[55:56], v[61:62], off offset:280
	global_load_dwordx2 v[53:54], v[63:64], off offset:280
	v_lshlrev_b32_e32 v0, 3, v201
	global_load_dwordx2 v[61:62], v[1:2], off offset:280
	global_load_dwordx2 v[63:64], v0, s[14:15] offset:280
	ds_read2_b32 v[0:1], v13 offset0:124 offset1:187
	ds_read2_b32 v[2:3], v3 offset0:108 offset1:171
	ds_read2_b32 v[13:14], v87 offset0:126 offset1:189
	ds_read2_b32 v[73:74], v12 offset0:118 offset1:181
	ds_read2_b32 v[75:76], v15 offset0:110 offset1:173
	ds_read2_b32 v[77:78], v65 offset0:116 offset1:179
	ds_read2_b32 v[79:80], v114 offset0:122 offset1:185
	ds_read2_b32 v[81:82], v10 offset0:114 offset1:177
	ds_read2_b32 v[83:84], v11 offset0:106 offset1:169
	s_waitcnt lgkmcnt(0)
	; wave barrier
	s_waitcnt lgkmcnt(0)
	ds_write2_b32 v87, v69, v191 offset1:72
	v_mov_b32_e32 v69, 0xd8
	v_cndmask_b32_e32 v69, 0, v69, vcc
	v_add_lshl_u32 v191, v66, v69, 2
	v_lshrrev_b32_e32 v66, 16, v68
	s_waitcnt vmcnt(6)
	v_mul_f16_sdwa v69, v66, v51 dst_sel:DWORD dst_unused:UNUSED_PAD src0_sel:DWORD src1_sel:WORD_1
	v_fma_f16 v69, v68, v51, -v69
	v_mul_f16_sdwa v68, v68, v51 dst_sel:DWORD dst_unused:UNUSED_PAD src0_sel:DWORD src1_sel:WORD_1
	v_fma_f16 v66, v66, v51, v68
	v_lshrrev_b32_e32 v68, 16, v70
	v_mul_f16_sdwa v202, v68, v52 dst_sel:DWORD dst_unused:UNUSED_PAD src0_sel:DWORD src1_sel:WORD_1
	v_fma_f16 v202, v70, v52, -v202
	v_mul_f16_sdwa v70, v70, v52 dst_sel:DWORD dst_unused:UNUSED_PAD src0_sel:DWORD src1_sel:WORD_1
	v_fma_f16 v68, v68, v52, v70
	v_fma_f16 v70, v193, s1, v71
	v_add_f16_e32 v71, v69, v202
	v_lshrrev_b32_e32 v193, 16, v72
	v_fma_f16 v67, v67, s0, v200
	v_fma_f16 v71, v71, -0.5, v72
	v_add_f16_e32 v72, v72, v69
	v_add_f16_e32 v200, v193, v66
	v_sub_f16_e32 v203, v66, v68
	v_add_f16_e32 v66, v66, v68
	v_add_f16_e32 v200, v200, v68
	v_fma_f16 v66, v66, -0.5, v193
	v_add_f16_e32 v68, v72, v202
	v_sub_f16_e32 v69, v69, v202
	v_pack_b32_f16 v67, v70, v67
	ds_write_b32 v87, v67 offset:576
	v_pack_b32_f16 v67, v68, v200
	v_fma_f16 v68, v203, s0, v71
	v_fma_f16 v70, v69, s1, v66
	v_pack_b32_f16 v68, v68, v70
	ds_write2_b32 v191, v67, v68 offset1:72
	v_fma_f16 v67, v203, s1, v71
	v_fma_f16 v66, v69, s0, v66
	v_lshrrev_b32_e32 v68, 16, v73
	v_lshrrev_b32_e32 v70, 16, v75
	v_lshrrev_b32_e32 v72, 16, v13
	v_pack_b32_f16 v66, v67, v66
	ds_write_b32 v191, v66 offset:576
	v_mul_u32_u24_e32 v66, 0xd8, v85
	v_add_lshl_u32 v192, v66, v192, 2
	v_mul_u32_u24_e32 v9, 0xd8, v9
                                        ; implicit-def: $vgpr203
	s_waitcnt vmcnt(5)
	v_mul_f16_sdwa v69, v73, v57 dst_sel:DWORD dst_unused:UNUSED_PAD src0_sel:DWORD src1_sel:WORD_1
	v_mul_f16_sdwa v71, v75, v58 dst_sel:DWORD dst_unused:UNUSED_PAD src0_sel:DWORD src1_sel:WORD_1
	v_fma_f16 v69, v68, v57, v69
	v_fma_f16 v71, v70, v58, v71
	v_mul_f16_sdwa v68, v68, v57 dst_sel:DWORD dst_unused:UNUSED_PAD src0_sel:DWORD src1_sel:WORD_1
	v_mul_f16_sdwa v70, v70, v58 dst_sel:DWORD dst_unused:UNUSED_PAD src0_sel:DWORD src1_sel:WORD_1
	v_add_f16_e32 v193, v72, v69
	v_sub_f16_e32 v200, v69, v71
	v_add_f16_e32 v69, v69, v71
	v_fma_f16 v68, v73, v57, -v68
	v_fma_f16 v70, v75, v58, -v70
	v_fma_f16 v69, v69, -0.5, v72
	v_add_f16_e32 v72, v68, v70
	v_add_f16_e32 v193, v193, v71
	;; [unrolled: 1-line block ×3, first 2 shown]
	v_sub_f16_e32 v68, v68, v70
	v_fma_f16 v13, v72, -0.5, v13
	v_add_f16_e32 v71, v71, v70
	v_fma_f16 v67, v200, s0, v13
	v_fma_f16 v70, v68, s1, v69
	v_pack_b32_f16 v66, v71, v193
	v_pack_b32_f16 v67, v67, v70
	ds_write2_b32 v192, v66, v67 offset1:72
	v_lshrrev_b32_e32 v66, 16, v74
	v_fma_f16 v68, v68, s0, v69
	v_fma_f16 v13, v200, s1, v13
	v_pack_b32_f16 v13, v13, v68
	s_waitcnt vmcnt(0)
	v_mul_f16_sdwa v70, v74, v63 dst_sel:DWORD dst_unused:UNUSED_PAD src0_sel:DWORD src1_sel:WORD_1
	v_mul_f16_sdwa v67, v66, v63 dst_sel:DWORD dst_unused:UNUSED_PAD src0_sel:DWORD src1_sel:WORD_1
	v_fma_f16 v66, v66, v63, v70
	v_lshrrev_b32_e32 v70, 16, v76
	v_mul_f16_sdwa v71, v70, v64 dst_sel:DWORD dst_unused:UNUSED_PAD src0_sel:DWORD src1_sel:WORD_1
	v_fma_f16 v67, v74, v63, -v67
	v_fma_f16 v71, v76, v64, -v71
	v_mul_f16_sdwa v72, v76, v64 dst_sel:DWORD dst_unused:UNUSED_PAD src0_sel:DWORD src1_sel:WORD_1
	v_fma_f16 v70, v70, v64, v72
	v_add_f16_e32 v69, v67, v71
	v_lshrrev_b32_e32 v72, 16, v14
	v_fma_f16 v69, v69, -0.5, v14
	v_add_f16_e32 v14, v14, v67
	v_add_f16_e32 v73, v72, v66
	v_sub_f16_e32 v74, v66, v70
	v_add_f16_e32 v66, v66, v70
	v_add_f16_e32 v73, v73, v70
	v_fma_f16 v66, v66, -0.5, v72
	v_add_f16_e32 v14, v14, v71
	v_sub_f16_e32 v67, v67, v71
	ds_write_b32 v192, v13 offset:576
	v_add_lshl_u32 v193, v9, v201, 2
	v_pack_b32_f16 v9, v14, v73
	v_fma_f16 v13, v74, s0, v69
	v_fma_f16 v14, v67, s1, v66
	v_pack_b32_f16 v13, v13, v14
	ds_write2_b32 v193, v9, v13 offset1:72
	v_fma_f16 v13, v67, s0, v66
	v_lshrrev_b32_e32 v14, 16, v77
	v_mul_f16_sdwa v66, v77, v61 dst_sel:DWORD dst_unused:UNUSED_PAD src0_sel:DWORD src1_sel:WORD_1
	v_lshrrev_b32_e32 v67, 16, v2
	v_mul_f16_sdwa v68, v2, v62 dst_sel:DWORD dst_unused:UNUSED_PAD src0_sel:DWORD src1_sel:WORD_1
	v_fma_f16 v9, v74, s1, v69
	v_fma_f16 v66, v14, v61, v66
	;; [unrolled: 1-line block ×3, first 2 shown]
	v_lshrrev_b32_e32 v69, 16, v0
	v_mul_f16_sdwa v14, v14, v61 dst_sel:DWORD dst_unused:UNUSED_PAD src0_sel:DWORD src1_sel:WORD_1
	v_mul_f16_sdwa v67, v67, v62 dst_sel:DWORD dst_unused:UNUSED_PAD src0_sel:DWORD src1_sel:WORD_1
	v_add_f16_e32 v70, v69, v66
	v_fma_f16 v14, v77, v61, -v14
	v_fma_f16 v2, v2, v62, -v67
	v_add_f16_e32 v70, v70, v68
	v_sub_f16_e32 v71, v66, v68
	v_add_f16_e32 v66, v66, v68
	v_add_f16_e32 v67, v0, v14
	;; [unrolled: 1-line block ×3, first 2 shown]
	v_fma_f16 v66, v66, -0.5, v69
	v_add_f16_e32 v67, v67, v2
	v_sub_f16_e32 v2, v14, v2
	v_pack_b32_f16 v9, v9, v13
	v_fma_f16 v0, v68, -0.5, v0
	ds_write_b32 v193, v9 offset:576
	v_mad_legacy_u16 v9, v86, s2, v194
	v_pack_b32_f16 v13, v67, v70
	v_fma_f16 v14, v71, s0, v0
	v_fma_f16 v67, v2, s1, v66
	v_pack_b32_f16 v14, v14, v67
	v_lshlrev_b32_e32 v194, 2, v9
	ds_write2_b32 v194, v13, v14 offset1:72
	v_lshrrev_b32_e32 v9, 16, v78
	v_mul_f16_sdwa v14, v78, v59 dst_sel:DWORD dst_unused:UNUSED_PAD src0_sel:DWORD src1_sel:WORD_1
	v_mul_f16_sdwa v13, v9, v59 dst_sel:DWORD dst_unused:UNUSED_PAD src0_sel:DWORD src1_sel:WORD_1
	v_fma_f16 v9, v9, v59, v14
	v_lshrrev_b32_e32 v14, 16, v3
	v_mul_f16_sdwa v67, v14, v60 dst_sel:DWORD dst_unused:UNUSED_PAD src0_sel:DWORD src1_sel:WORD_1
	v_fma_f16 v67, v3, v60, -v67
	v_mul_f16_sdwa v3, v3, v60 dst_sel:DWORD dst_unused:UNUSED_PAD src0_sel:DWORD src1_sel:WORD_1
	v_fma_f16 v2, v2, s0, v66
	v_lshrrev_b32_e32 v66, 16, v1
	v_fma_f16 v13, v78, v59, -v13
	v_fma_f16 v3, v14, v60, v3
	v_add_f16_e32 v68, v66, v9
	v_fma_f16 v0, v71, s1, v0
	v_add_f16_e32 v14, v13, v67
	v_add_f16_e32 v68, v68, v3
	v_sub_f16_e32 v69, v9, v3
	v_add_f16_e32 v3, v9, v3
	v_fma_f16 v14, v14, -0.5, v1
	v_add_f16_e32 v1, v1, v13
	v_fma_f16 v3, v3, -0.5, v66
	v_sub_f16_e32 v9, v13, v67
	v_pack_b32_f16 v0, v0, v2
	v_add_f16_e32 v1, v1, v67
	ds_write_b32 v194, v0 offset:576
	v_mad_legacy_u16 v0, v195, s2, v196
	v_fma_f16 v2, v69, s0, v14
	v_fma_f16 v13, v9, s1, v3
	v_pack_b32_f16 v1, v1, v68
	v_pack_b32_f16 v2, v2, v13
	v_lshlrev_b32_e32 v195, 2, v0
	ds_write2_b32 v195, v1, v2 offset1:72
	v_fma_f16 v1, v9, s0, v3
	v_lshrrev_b32_e32 v2, 16, v81
	v_mul_f16_sdwa v3, v81, v55 dst_sel:DWORD dst_unused:UNUSED_PAD src0_sel:DWORD src1_sel:WORD_1
	v_lshrrev_b32_e32 v9, 16, v83
	v_mul_f16_sdwa v13, v83, v56 dst_sel:DWORD dst_unused:UNUSED_PAD src0_sel:DWORD src1_sel:WORD_1
	v_fma_f16 v0, v69, s1, v14
	v_fma_f16 v3, v2, v55, v3
	;; [unrolled: 1-line block ×3, first 2 shown]
	v_lshrrev_b32_e32 v14, 16, v79
	v_mul_f16_sdwa v2, v2, v55 dst_sel:DWORD dst_unused:UNUSED_PAD src0_sel:DWORD src1_sel:WORD_1
	v_mul_f16_sdwa v9, v9, v56 dst_sel:DWORD dst_unused:UNUSED_PAD src0_sel:DWORD src1_sel:WORD_1
	v_add_f16_e32 v66, v14, v3
	v_sub_f16_e32 v67, v3, v13
	v_add_f16_e32 v3, v3, v13
	v_fma_f16 v2, v81, v55, -v2
	v_fma_f16 v9, v83, v56, -v9
	v_add_f16_e32 v66, v66, v13
	v_fma_f16 v3, v3, -0.5, v14
	v_add_f16_e32 v13, v79, v2
	v_add_f16_e32 v14, v2, v9
	;; [unrolled: 1-line block ×3, first 2 shown]
	v_sub_f16_e32 v2, v2, v9
	v_pack_b32_f16 v0, v0, v1
	v_fma_f16 v9, v14, -0.5, v79
	ds_write_b32 v195, v0 offset:576
	v_mad_legacy_u16 v0, v197, s2, v198
	v_pack_b32_f16 v1, v13, v66
	v_fma_f16 v13, v67, s0, v9
	v_fma_f16 v14, v2, s1, v3
	v_pack_b32_f16 v13, v13, v14
	v_lshlrev_b32_e32 v196, 2, v0
	ds_write2_b32 v196, v1, v13 offset1:72
	v_lshrrev_b32_e32 v0, 16, v82
	v_mul_f16_sdwa v13, v82, v53 dst_sel:DWORD dst_unused:UNUSED_PAD src0_sel:DWORD src1_sel:WORD_1
	v_mul_f16_sdwa v1, v0, v53 dst_sel:DWORD dst_unused:UNUSED_PAD src0_sel:DWORD src1_sel:WORD_1
	v_fma_f16 v0, v0, v53, v13
	v_lshrrev_b32_e32 v13, 16, v84
	v_mul_f16_sdwa v66, v84, v54 dst_sel:DWORD dst_unused:UNUSED_PAD src0_sel:DWORD src1_sel:WORD_1
	v_mul_f16_sdwa v14, v13, v54 dst_sel:DWORD dst_unused:UNUSED_PAD src0_sel:DWORD src1_sel:WORD_1
	v_fma_f16 v13, v13, v54, v66
	v_lshrrev_b32_e32 v66, 16, v80
	v_fma_f16 v1, v82, v53, -v1
	v_fma_f16 v14, v84, v54, -v14
	v_add_f16_e32 v68, v66, v0
	v_fma_f16 v2, v2, s0, v3
	v_add_f16_e32 v3, v1, v14
	v_add_f16_e32 v202, v68, v13
	v_sub_f16_e32 v68, v0, v13
	v_add_f16_e32 v0, v0, v13
	v_fma_f16 v9, v67, s1, v9
	v_fma_f16 v3, v3, -0.5, v80
	v_add_f16_e32 v67, v80, v1
	v_fma_f16 v0, v0, -0.5, v66
	v_sub_f16_e32 v1, v1, v14
	v_pack_b32_f16 v2, v9, v2
	v_add_f16_e32 v73, v67, v14
	v_fma_f16 v74, v68, s0, v3
	v_lshlrev_b32_e32 v197, 2, v199
	v_fma_f16 v235, v1, s1, v0
	v_fma_f16 v237, v1, s0, v0
	;; [unrolled: 1-line block ×3, first 2 shown]
	ds_write_b32 v196, v2 offset:576
	v_pack_b32_f16 v2, v73, v202
	v_pack_b32_f16 v9, v74, v235
	v_add_u32_e32 v13, 0x1400, v197
	v_pack_b32_f16 v0, v67, v237
	ds_write2_b32 v13, v2, v9 offset0:16 offset1:88
	ds_write_b32 v197, v0 offset:5760
	s_waitcnt lgkmcnt(0)
	; wave barrier
	s_waitcnt lgkmcnt(0)
	ds_read2_b32 v[2:3], v12 offset0:46 offset1:136
	ds_read2_b32 v[13:14], v10 offset0:96 offset1:159
	;; [unrolled: 1-line block ×5, first 2 shown]
	ds_read_b32 v226, v87 offset:5688
	ds_read2_b32 v[77:78], v87 offset1:63
	ds_read2_b32 v[75:76], v87 offset0:126 offset1:216
	ds_read2_b32 v[85:86], v114 offset0:176 offset1:239
	;; [unrolled: 1-line block ×4, first 2 shown]
	s_load_dwordx2 s[2:3], s[4:5], 0x38
	v_cmp_gt_u16_e64 s[0:1], 27, v111
                                        ; implicit-def: $vgpr80
	s_and_saveexec_b64 s[4:5], s[0:1]
	s_cbranch_execz .LBB0_3
; %bb.2:
	v_add_u32_e32 v6, 0x280, v87
	ds_read2_b32 v[73:74], v6 offset0:29 offset1:245
	v_add_u32_e32 v6, 0x980, v87
	ds_read2_b32 v[67:68], v6 offset0:13 offset1:229
	ds_read2_b32 v[79:80], v15 offset0:29 offset1:245
	ds_read_b32 v203, v87 offset:5940
	s_waitcnt lgkmcnt(0)
	v_lshrrev_b32_e32 v202, 16, v73
	v_lshrrev_b32_e32 v235, 16, v74
	;; [unrolled: 1-line block ×7, first 2 shown]
.LBB0_3:
	s_or_b64 exec, exec, s[4:5]
	v_mad_u64_u32 v[224:225], s[4:5], v111, 24, s[14:15]
	v_lshlrev_b32_e32 v201, 2, v7
	v_lshlrev_b32_e32 v200, 3, v5
	;; [unrolled: 1-line block ×3, first 2 shown]
	global_load_dwordx4 v[4:7], v[224:225], off offset:856
	v_lshlrev_b32_e32 v199, 3, v8
	s_waitcnt lgkmcnt(0)
	v_lshrrev_b32_e32 v8, 16, v76
	v_lshrrev_b32_e32 v9, 16, v85
	;; [unrolled: 1-line block ×18, first 2 shown]
	s_movk_i32 s5, 0x2b26
	s_movk_i32 s4, 0x3b00
	s_mov_b32 s6, 0xbcab
	s_movk_i32 s7, 0x39e0
	s_movk_i32 s16, 0x3574
	s_mov_b32 s17, 0xb574
	s_waitcnt vmcnt(0)
	v_mul_f16_sdwa v65, v8, v4 dst_sel:DWORD dst_unused:UNUSED_PAD src0_sel:DWORD src1_sel:WORD_1
	v_fma_f16 v206, v76, v4, -v65
	v_mul_f16_sdwa v65, v76, v4 dst_sel:DWORD dst_unused:UNUSED_PAD src0_sel:DWORD src1_sel:WORD_1
	v_fma_f16 v207, v8, v4, v65
	global_load_dwordx2 v[65:66], v[224:225], off offset:872
	v_mul_f16_sdwa v8, v9, v5 dst_sel:DWORD dst_unused:UNUSED_PAD src0_sel:DWORD src1_sel:WORD_1
	v_fma_f16 v76, v85, v5, -v8
	v_mul_f16_sdwa v8, v85, v5 dst_sel:DWORD dst_unused:UNUSED_PAD src0_sel:DWORD src1_sel:WORD_1
	v_fma_f16 v208, v9, v5, v8
	v_mul_f16_sdwa v8, v10, v6 dst_sel:DWORD dst_unused:UNUSED_PAD src0_sel:DWORD src1_sel:WORD_1
	v_fma_f16 v85, v3, v6, -v8
	v_mul_f16_sdwa v3, v3, v6 dst_sel:DWORD dst_unused:UNUSED_PAD src0_sel:DWORD src1_sel:WORD_1
	v_fma_f16 v209, v10, v6, v3
	;; [unrolled: 4-line block ×3, first 2 shown]
	s_waitcnt vmcnt(0)
	v_mul_f16_sdwa v3, v69, v65 dst_sel:DWORD dst_unused:UNUSED_PAD src0_sel:DWORD src1_sel:WORD_1
	v_fma_f16 v227, v1, v65, -v3
	v_mul_f16_sdwa v1, v1, v65 dst_sel:DWORD dst_unused:UNUSED_PAD src0_sel:DWORD src1_sel:WORD_1
	v_fma_f16 v228, v69, v65, v1
	v_mul_f16_sdwa v1, v72, v66 dst_sel:DWORD dst_unused:UNUSED_PAD src0_sel:DWORD src1_sel:WORD_1
	v_fma_f16 v229, v11, v66, -v1
	v_mul_f16_sdwa v1, v11, v66 dst_sel:DWORD dst_unused:UNUSED_PAD src0_sel:DWORD src1_sel:WORD_1
	global_load_dwordx4 v[8:11], v[224:225], off offset:2368
	v_fma_f16 v230, v72, v66, v1
	s_waitcnt vmcnt(0)
	v_mul_f16_sdwa v1, v213, v8 dst_sel:DWORD dst_unused:UNUSED_PAD src0_sel:DWORD src1_sel:WORD_1
	v_fma_f16 v212, v83, v8, -v1
	v_mul_f16_sdwa v1, v83, v8 dst_sel:DWORD dst_unused:UNUSED_PAD src0_sel:DWORD src1_sel:WORD_1
	v_fma_f16 v213, v213, v8, v1
	v_mul_f16_sdwa v1, v214, v9 dst_sel:DWORD dst_unused:UNUSED_PAD src0_sel:DWORD src1_sel:WORD_1
	v_fma_f16 v83, v86, v9, -v1
	v_mul_f16_sdwa v1, v86, v9 dst_sel:DWORD dst_unused:UNUSED_PAD src0_sel:DWORD src1_sel:WORD_1
	v_fma_f16 v214, v214, v9, v1
	v_mul_f16_sdwa v1, v215, v10 dst_sel:DWORD dst_unused:UNUSED_PAD src0_sel:DWORD src1_sel:WORD_1
	v_fma_f16 v86, v70, v10, -v1
	v_mul_f16_sdwa v1, v70, v10 dst_sel:DWORD dst_unused:UNUSED_PAD src0_sel:DWORD src1_sel:WORD_1
	global_load_dwordx2 v[69:70], v[224:225], off offset:2384
	v_fma_f16 v215, v215, v10, v1
	v_mul_f16_sdwa v1, v217, v11 dst_sel:DWORD dst_unused:UNUSED_PAD src0_sel:DWORD src1_sel:WORD_1
	v_fma_f16 v216, v14, v11, -v1
	v_mul_f16_sdwa v1, v14, v11 dst_sel:DWORD dst_unused:UNUSED_PAD src0_sel:DWORD src1_sel:WORD_1
	v_fma_f16 v217, v217, v11, v1
	s_waitcnt vmcnt(0)
	v_mul_f16_sdwa v1, v218, v69 dst_sel:DWORD dst_unused:UNUSED_PAD src0_sel:DWORD src1_sel:WORD_1
	v_fma_f16 v231, v81, v69, -v1
	v_mul_f16_sdwa v1, v81, v69 dst_sel:DWORD dst_unused:UNUSED_PAD src0_sel:DWORD src1_sel:WORD_1
	v_fma_f16 v232, v218, v69, v1
	v_mul_f16_sdwa v1, v219, v70 dst_sel:DWORD dst_unused:UNUSED_PAD src0_sel:DWORD src1_sel:WORD_1
	v_fma_f16 v233, v12, v70, -v1
	v_mul_f16_sdwa v1, v12, v70 dst_sel:DWORD dst_unused:UNUSED_PAD src0_sel:DWORD src1_sel:WORD_1
	global_load_dwordx4 v[12:15], v[224:225], off offset:3880
	v_fma_f16 v234, v219, v70, v1
	s_waitcnt vmcnt(0)
	v_mul_f16_sdwa v1, v220, v12 dst_sel:DWORD dst_unused:UNUSED_PAD src0_sel:DWORD src1_sel:WORD_1
	v_fma_f16 v81, v84, v12, -v1
	v_mul_f16_sdwa v1, v84, v12 dst_sel:DWORD dst_unused:UNUSED_PAD src0_sel:DWORD src1_sel:WORD_1
	v_fma_f16 v219, v220, v12, v1
	v_mul_f16_sdwa v1, v221, v13 dst_sel:DWORD dst_unused:UNUSED_PAD src0_sel:DWORD src1_sel:WORD_1
	v_fma_f16 v84, v2, v13, -v1
	v_mul_f16_sdwa v1, v2, v13 dst_sel:DWORD dst_unused:UNUSED_PAD src0_sel:DWORD src1_sel:WORD_1
	v_fma_f16 v220, v221, v13, v1
	v_mul_f16_sdwa v1, v222, v14 dst_sel:DWORD dst_unused:UNUSED_PAD src0_sel:DWORD src1_sel:WORD_1
	v_fma_f16 v218, v71, v14, -v1
	v_mul_f16_sdwa v1, v71, v14 dst_sel:DWORD dst_unused:UNUSED_PAD src0_sel:DWORD src1_sel:WORD_1
	global_load_dwordx2 v[71:72], v[224:225], off offset:3896
	v_fma_f16 v221, v222, v14, v1
	v_mul_f16_sdwa v1, v223, v15 dst_sel:DWORD dst_unused:UNUSED_PAD src0_sel:DWORD src1_sel:WORD_1
	v_fma_f16 v222, v0, v15, -v1
	v_mul_f16_sdwa v0, v0, v15 dst_sel:DWORD dst_unused:UNUSED_PAD src0_sel:DWORD src1_sel:WORD_1
	v_fma_f16 v223, v223, v15, v0
	s_waitcnt vmcnt(0)
	v_mul_f16_sdwa v0, v236, v71 dst_sel:DWORD dst_unused:UNUSED_PAD src0_sel:DWORD src1_sel:WORD_1
	v_fma_f16 v224, v82, v71, -v0
	v_mul_f16_sdwa v0, v82, v71 dst_sel:DWORD dst_unused:UNUSED_PAD src0_sel:DWORD src1_sel:WORD_1
	v_fma_f16 v82, v236, v71, v0
	v_mul_f16_sdwa v0, v239, v72 dst_sel:DWORD dst_unused:UNUSED_PAD src0_sel:DWORD src1_sel:WORD_1
	v_fma_f16 v225, v226, v72, -v0
	v_mul_f16_sdwa v0, v226, v72 dst_sel:DWORD dst_unused:UNUSED_PAD src0_sel:DWORD src1_sel:WORD_1
	v_fma_f16 v226, v239, v72, v0
	v_subrev_u32_e32 v0, 27, v111
	v_cndmask_b32_e64 v0, v0, v115, s[0:1]
	v_mul_hi_i32_i24_e32 v1, 24, v0
	v_mul_i32_i24_e32 v0, 24, v0
	v_add_co_u32_e32 v241, vcc, s14, v0
	v_mov_b32_e32 v0, s15
	v_addc_co_u32_e32 v242, vcc, v0, v1, vcc
	global_load_dwordx4 v[0:3], v[241:242], off offset:856
	s_mov_b32 s15, 0xb9e0
	s_movk_i32 s14, 0x370e
	s_waitcnt vmcnt(0)
	v_mul_f16_sdwa v115, v235, v0 dst_sel:DWORD dst_unused:UNUSED_PAD src0_sel:DWORD src1_sel:WORD_1
	v_fma_f16 v115, v74, v0, -v115
	v_mul_f16_sdwa v74, v74, v0 dst_sel:DWORD dst_unused:UNUSED_PAD src0_sel:DWORD src1_sel:WORD_1
	v_fma_f16 v236, v235, v0, v74
	v_mul_f16_sdwa v74, v237, v1 dst_sel:DWORD dst_unused:UNUSED_PAD src0_sel:DWORD src1_sel:WORD_1
	v_fma_f16 v74, v67, v1, -v74
	v_mul_f16_sdwa v67, v67, v1 dst_sel:DWORD dst_unused:UNUSED_PAD src0_sel:DWORD src1_sel:WORD_1
	v_fma_f16 v237, v237, v1, v67
	;; [unrolled: 4-line block ×4, first 2 shown]
	global_load_dwordx2 v[67:68], v[241:242], off offset:872
	v_add_f16_e32 v241, v207, v230
	v_sub_f16_e32 v207, v207, v230
	v_add_f16_e32 v230, v208, v228
	v_sub_f16_e32 v208, v208, v228
	;; [unrolled: 2-line block ×4, first 2 shown]
	v_sub_f16_e32 v241, v241, v228
	v_sub_f16_e32 v230, v228, v230
	v_add_f16_e32 v245, v209, v208
	v_sub_f16_e32 v247, v209, v208
	v_sub_f16_e32 v208, v208, v207
	v_add_f16_e32 v211, v228, v211
	v_sub_f16_e32 v209, v207, v209
	v_add_f16_e32 v207, v245, v207
	v_add_f16_sdwa v228, v77, v211 dst_sel:DWORD dst_unused:UNUSED_PAD src0_sel:WORD_1 src1_sel:DWORD
	v_mul_f16_e32 v248, 0x3b00, v208
	v_fma_f16 v211, v211, s6, v228
	s_waitcnt vmcnt(0)
	v_mul_f16_sdwa v240, v204, v67 dst_sel:DWORD dst_unused:UNUSED_PAD src0_sel:DWORD src1_sel:WORD_1
	v_fma_f16 v240, v80, v67, -v240
	v_mul_f16_sdwa v80, v80, v67 dst_sel:DWORD dst_unused:UNUSED_PAD src0_sel:DWORD src1_sel:WORD_1
	v_fma_f16 v80, v204, v67, v80
	v_mul_f16_sdwa v204, v205, v68 dst_sel:DWORD dst_unused:UNUSED_PAD src0_sel:DWORD src1_sel:WORD_1
	v_fma_f16 v204, v203, v68, -v204
	v_mul_f16_sdwa v203, v203, v68 dst_sel:DWORD dst_unused:UNUSED_PAD src0_sel:DWORD src1_sel:WORD_1
	v_fma_f16 v203, v205, v68, v203
	v_add_f16_e32 v205, v206, v229
	v_sub_f16_e32 v206, v206, v229
	v_add_f16_e32 v229, v76, v227
	v_sub_f16_e32 v76, v76, v227
	;; [unrolled: 2-line block ×4, first 2 shown]
	v_sub_f16_e32 v205, v205, v227
	v_sub_f16_e32 v229, v227, v229
	v_add_f16_e32 v244, v85, v76
	v_sub_f16_e32 v246, v85, v76
	v_sub_f16_e32 v76, v76, v206
	v_add_f16_e32 v210, v227, v210
	v_sub_f16_e32 v85, v206, v85
	v_add_f16_e32 v206, v244, v206
	v_add_f16_e32 v227, v77, v210
	v_mul_f16_e32 v77, 0x3a52, v205
	v_mul_f16_e32 v205, 0x3a52, v241
	;; [unrolled: 1-line block ×7, first 2 shown]
	v_fma_f16 v210, v210, s6, v227
	v_fma_f16 v229, v229, s5, v77
	;; [unrolled: 1-line block ×3, first 2 shown]
	v_fma_f16 v241, v242, s7, -v241
	v_fma_f16 v244, v243, s7, -v244
	;; [unrolled: 1-line block ×4, first 2 shown]
	v_fma_f16 v242, v85, s16, v245
	v_fma_f16 v243, v209, s16, v246
	v_fma_f16 v76, v76, s4, -v245
	v_fma_f16 v208, v208, s4, -v246
	;; [unrolled: 1-line block ×4, first 2 shown]
	v_add_f16_e32 v229, v229, v210
	v_add_f16_e32 v230, v230, v211
	;; [unrolled: 1-line block ×6, first 2 shown]
	v_fma_f16 v210, v206, s14, v242
	v_fma_f16 v211, v207, s14, v243
	;; [unrolled: 1-line block ×6, first 2 shown]
	v_add_f16_e32 v207, v211, v229
	v_add_f16_e32 v242, v206, v77
	v_sub_f16_e32 v243, v205, v85
	v_sub_f16_e32 v245, v241, v208
	v_add_f16_e32 v246, v76, v244
	v_add_f16_e32 v208, v208, v241
	v_sub_f16_e32 v241, v244, v76
	v_sub_f16_e32 v206, v77, v206
	v_add_f16_e32 v205, v85, v205
	v_sub_f16_e32 v211, v229, v211
	v_add_f16_e32 v76, v212, v233
	v_add_f16_e32 v77, v213, v234
	v_sub_f16_e32 v85, v212, v233
	v_sub_f16_e32 v212, v213, v234
	v_add_f16_e32 v213, v83, v231
	v_add_f16_e32 v229, v214, v232
	v_sub_f16_e32 v209, v230, v210
	v_add_f16_e32 v210, v210, v230
	v_sub_f16_e32 v83, v83, v231
	v_sub_f16_e32 v214, v214, v232
	v_add_f16_e32 v230, v86, v216
	v_add_f16_e32 v231, v215, v217
	v_sub_f16_e32 v86, v216, v86
	v_sub_f16_e32 v215, v217, v215
	v_add_f16_e32 v216, v213, v76
	v_add_f16_e32 v217, v229, v77
	v_sub_f16_e32 v232, v213, v76
	v_sub_f16_e32 v233, v229, v77
	v_sub_f16_e32 v76, v76, v230
	v_sub_f16_e32 v77, v77, v231
	v_sub_f16_e32 v213, v230, v213
	v_sub_f16_e32 v229, v231, v229
	v_add_f16_e32 v234, v86, v83
	v_add_f16_e32 v244, v215, v214
	v_sub_f16_e32 v247, v86, v83
	v_sub_f16_e32 v248, v215, v214
	;; [unrolled: 1-line block ×4, first 2 shown]
	v_add_f16_e32 v216, v230, v216
	v_add_f16_e32 v217, v231, v217
	v_sub_f16_e32 v86, v85, v86
	v_sub_f16_e32 v215, v212, v215
	v_add_f16_e32 v85, v234, v85
	v_add_f16_e32 v212, v244, v212
	;; [unrolled: 1-line block ×3, first 2 shown]
	v_add_f16_sdwa v231, v78, v217 dst_sel:DWORD dst_unused:UNUSED_PAD src0_sel:WORD_1 src1_sel:DWORD
	v_mul_f16_e32 v76, 0x3a52, v76
	v_mul_f16_e32 v77, 0x3a52, v77
	;; [unrolled: 1-line block ×8, first 2 shown]
	v_fma_f16 v216, v216, s6, v230
	v_fma_f16 v217, v217, s6, v231
	;; [unrolled: 1-line block ×4, first 2 shown]
	v_fma_f16 v78, v232, s7, -v78
	v_fma_f16 v234, v233, s7, -v234
	;; [unrolled: 1-line block ×4, first 2 shown]
	v_fma_f16 v232, v86, s16, v244
	v_fma_f16 v233, v215, s16, v247
	v_fma_f16 v83, v83, s4, -v244
	v_fma_f16 v86, v86, s17, -v248
	;; [unrolled: 1-line block ×3, first 2 shown]
	v_pack_b32_f16 v207, v207, v209
	v_fma_f16 v214, v214, s4, -v247
	v_add_f16_e32 v213, v213, v216
	v_add_f16_e32 v78, v78, v216
	;; [unrolled: 1-line block ×5, first 2 shown]
	v_fma_f16 v216, v85, s14, v232
	v_fma_f16 v83, v85, s14, v83
	;; [unrolled: 1-line block ×4, first 2 shown]
	ds_write_b32 v87, v207 offset:864
	v_pack_b32_f16 v207, v242, v243
	v_pack_b32_f16 v205, v206, v205
	v_add_f16_e32 v229, v229, v217
	v_fma_f16 v217, v212, s14, v233
	v_fma_f16 v214, v212, s14, v214
	v_add_f16_e32 v232, v86, v76
	v_sub_f16_e32 v233, v77, v85
	v_add_f16_e32 v247, v83, v234
	v_sub_f16_e32 v234, v234, v83
	v_sub_f16_e32 v248, v76, v86
	v_add_f16_e32 v249, v85, v77
	v_add_f16_e32 v76, v81, v225
	;; [unrolled: 1-line block ×5, first 2 shown]
	ds_write_b32 v87, v207 offset:1728
	v_pack_b32_f16 v207, v245, v246
	ds_write_b32 v87, v205 offset:4320
	v_pack_b32_f16 v205, v211, v210
	v_add_f16_e32 v212, v217, v213
	v_sub_f16_e32 v244, v78, v214
	v_add_f16_e32 v214, v214, v78
	v_sub_f16_e32 v213, v213, v217
	v_sub_f16_e32 v78, v81, v225
	;; [unrolled: 1-line block ×5, first 2 shown]
	v_add_f16_e32 v86, v218, v222
	v_add_f16_e32 v217, v221, v223
	v_sub_f16_e32 v218, v222, v218
	v_sub_f16_e32 v219, v223, v221
	v_add_f16_e32 v220, v83, v76
	v_add_f16_e32 v221, v85, v77
	v_pack_b32_f16 v227, v227, v228
	ds_write_b32 v87, v207 offset:2592
	v_pack_b32_f16 v207, v208, v241
	ds_write_b32 v87, v205 offset:5184
	v_pack_b32_f16 v205, v230, v231
	v_pack_b32_f16 v206, v232, v233
	v_sub_f16_e32 v215, v229, v216
	v_add_f16_e32 v216, v216, v229
	v_sub_f16_e32 v222, v83, v76
	v_sub_f16_e32 v223, v85, v77
	;; [unrolled: 1-line block ×6, first 2 shown]
	v_add_f16_e32 v224, v218, v84
	v_add_f16_e32 v225, v219, v82
	v_sub_f16_e32 v226, v218, v84
	v_sub_f16_e32 v229, v219, v82
	;; [unrolled: 1-line block ×4, first 2 shown]
	v_add_f16_e32 v86, v86, v220
	v_add_f16_e32 v217, v217, v221
	ds_write_b32 v87, v207 offset:3456
	ds_write2_b32 v87, v227, v205 offset1:63
	ds_write_b32 v87, v206 offset:1980
	v_pack_b32_f16 v206, v244, v247
	v_sub_f16_e32 v218, v78, v218
	v_sub_f16_e32 v219, v81, v219
	v_add_f16_e32 v78, v224, v78
	v_add_f16_e32 v81, v225, v81
	;; [unrolled: 1-line block ×3, first 2 shown]
	v_add_f16_sdwa v221, v75, v217 dst_sel:DWORD dst_unused:UNUSED_PAD src0_sel:WORD_1 src1_sel:DWORD
	v_mul_f16_e32 v75, 0x3a52, v76
	v_mul_f16_e32 v76, 0x3a52, v77
	;; [unrolled: 1-line block ×8, first 2 shown]
	ds_write_b32 v87, v206 offset:2844
	v_pack_b32_f16 v206, v214, v234
	v_fma_f16 v86, v86, s6, v220
	v_fma_f16 v217, v217, s6, v221
	;; [unrolled: 1-line block ×4, first 2 shown]
	v_fma_f16 v77, v222, s7, -v77
	v_fma_f16 v224, v223, s7, -v224
	;; [unrolled: 1-line block ×4, first 2 shown]
	v_fma_f16 v222, v218, s16, v225
	v_fma_f16 v223, v219, s16, v226
	v_fma_f16 v84, v84, s4, -v225
	v_fma_f16 v82, v82, s4, -v226
	;; [unrolled: 1-line block ×4, first 2 shown]
	ds_write_b32 v87, v206 offset:3708
	v_pack_b32_f16 v206, v248, v249
	v_add_f16_e32 v83, v83, v86
	v_add_f16_e32 v85, v85, v217
	;; [unrolled: 1-line block ×6, first 2 shown]
	v_fma_f16 v86, v78, s14, v222
	v_fma_f16 v217, v81, s14, v223
	;; [unrolled: 1-line block ×6, first 2 shown]
	ds_write_b32 v87, v206 offset:4572
	v_pack_b32_f16 v206, v213, v216
	v_add_f16_e32 v218, v217, v83
	v_sub_f16_e32 v219, v85, v86
	v_add_f16_e32 v222, v81, v75
	v_sub_f16_e32 v223, v76, v78
	v_sub_f16_e32 v225, v77, v82
	v_add_f16_e32 v229, v82, v77
	v_sub_f16_e32 v250, v75, v81
	v_add_f16_e32 v251, v78, v76
	v_add_f16_e32 v75, v115, v204
	;; [unrolled: 1-line block ×5, first 2 shown]
	ds_write_b32 v87, v206 offset:5436
	v_pack_b32_f16 v206, v220, v221
	v_add_f16_e32 v226, v84, v224
	v_sub_f16_e32 v224, v224, v84
	v_sub_f16_e32 v217, v83, v217
	v_add_f16_e32 v252, v86, v85
	v_sub_f16_e32 v77, v115, v204
	v_sub_f16_e32 v78, v236, v203
	;; [unrolled: 1-line block ×4, first 2 shown]
	v_add_f16_e32 v83, v235, v239
	v_add_f16_e32 v84, v238, v79
	v_sub_f16_e32 v85, v239, v235
	v_sub_f16_e32 v79, v79, v238
	v_add_f16_e32 v86, v81, v75
	v_add_f16_e32 v115, v82, v76
	v_pack_b32_f16 v205, v212, v215
	ds_write_b32 v87, v206 offset:504
	v_pack_b32_f16 v206, v218, v219
	v_sub_f16_e32 v203, v81, v75
	v_sub_f16_e32 v204, v82, v76
	;; [unrolled: 1-line block ×6, first 2 shown]
	v_add_f16_e32 v82, v85, v74
	v_add_f16_e32 v236, v79, v80
	v_sub_f16_e32 v237, v85, v74
	v_sub_f16_e32 v238, v79, v80
	;; [unrolled: 1-line block ×4, first 2 shown]
	v_add_f16_e32 v83, v83, v86
	v_add_f16_e32 v84, v84, v115
	ds_write2_b32 v114, v205, v206 offset0:23 offset1:86
	v_pack_b32_f16 v114, v222, v223
	v_sub_f16_e32 v85, v77, v85
	v_sub_f16_e32 v79, v78, v79
	v_add_f16_e32 v77, v82, v77
	v_add_f16_e32 v78, v236, v78
	v_add_f16_e32 v73, v73, v83
	v_add_f16_e32 v82, v202, v84
	v_mul_f16_e32 v75, 0x3a52, v75
	v_mul_f16_e32 v76, 0x3a52, v76
	;; [unrolled: 1-line block ×8, first 2 shown]
	ds_write_b32 v87, v114 offset:2232
	v_pack_b32_f16 v114, v225, v226
	v_fma_f16 v239, v83, s6, v73
	v_fma_f16 v240, v84, s6, v82
	;; [unrolled: 1-line block ×4, first 2 shown]
	v_fma_f16 v86, v203, s7, -v86
	v_fma_f16 v115, v204, s7, -v115
	v_fma_f16 v75, v203, s15, -v75
	v_fma_f16 v76, v204, s15, -v76
	v_fma_f16 v203, v85, s16, v202
	v_fma_f16 v204, v79, s16, v236
	v_fma_f16 v74, v74, s4, -v202
	v_fma_f16 v80, v80, s4, -v236
	v_fma_f16 v235, v85, s17, -v237
	v_fma_f16 v79, v79, s17, -v238
	ds_write_b32 v87, v114 offset:3096
	v_pack_b32_f16 v114, v229, v224
	v_add_f16_e32 v83, v81, v239
	v_add_f16_e32 v84, v84, v240
	;; [unrolled: 1-line block ×6, first 2 shown]
	v_fma_f16 v86, v77, s14, v203
	v_fma_f16 v115, v78, s14, v204
	;; [unrolled: 1-line block ×6, first 2 shown]
	ds_write_b32 v87, v114 offset:3960
	v_pack_b32_f16 v114, v250, v251
	v_sub_f16_e32 v74, v81, v75
	v_add_f16_e32 v78, v76, v236
	v_add_f16_e32 v75, v75, v81
	v_sub_f16_e32 v79, v236, v76
	v_sub_f16_e32 v76, v85, v204
	v_add_f16_e32 v77, v203, v202
	v_sub_f16_e32 v80, v83, v115
	v_add_f16_e32 v81, v86, v84
	ds_write_b32 v87, v114 offset:4824
	v_pack_b32_f16 v114, v217, v252
	ds_write_b32 v87, v114 offset:5688
	s_and_saveexec_b64 s[4:5], s[0:1]
	s_cbranch_execz .LBB0_5
; %bb.4:
	v_sub_f16_e32 v84, v84, v86
	v_add_f16_e32 v83, v115, v83
	s_mov_b32 s6, 0x5040100
	v_sub_f16_e32 v114, v202, v203
	v_add_f16_e32 v85, v204, v85
	v_perm_b32 v73, v82, v73, s6
	v_pack_b32_f16 v82, v83, v84
	v_add_u32_e32 v83, 0x280, v87
	ds_write2_b32 v83, v73, v82 offset0:29 offset1:245
	v_pack_b32_f16 v73, v85, v114
	v_perm_b32 v82, v78, v74, s6
	v_add_u32_e32 v83, 0x980, v87
	ds_write2_b32 v83, v73, v82 offset0:13 offset1:229
	v_perm_b32 v73, v79, v75, s6
	v_perm_b32 v82, v77, v76, s6
	v_add_u32_e32 v83, 0x1000, v87
	ds_write2_b32 v83, v73, v82 offset0:29 offset1:245
	v_perm_b32 v73, v81, v80, s6
	ds_write_b32 v87, v73 offset:5940
.LBB0_5:
	s_or_b64 exec, exec, s[4:5]
	v_lshlrev_b32_e32 v73, 2, v111
	v_mov_b32_e32 v82, s13
	v_add_co_u32_e32 v73, vcc, s12, v73
	v_addc_co_u32_e32 v203, vcc, 0, v82, vcc
	v_add_co_u32_e32 v85, vcc, 0x17a0, v73
	v_addc_co_u32_e32 v86, vcc, 0, v203, vcc
	s_waitcnt lgkmcnt(0)
	; wave barrier
	s_waitcnt lgkmcnt(0)
	global_load_dword v204, v[85:86], off offset:252
	v_add_co_u32_e32 v82, vcc, 0x1000, v73
	v_addc_co_u32_e32 v83, vcc, 0, v203, vcc
	global_load_dword v82, v[82:83], off offset:1952
	s_nop 0
	global_load_dword v205, v[85:86], off offset:3024
	global_load_dword v206, v[85:86], off offset:3276
	;; [unrolled: 1-line block ×7, first 2 shown]
	ds_read2_b32 v[114:115], v87 offset1:63
	global_load_dword v212, v[85:86], off offset:4032
	global_load_dword v213, v[85:86], off offset:1260
	;; [unrolled: 1-line block ×8, first 2 shown]
	s_movk_i32 s4, 0x2000
	v_add_co_u32_e32 v202, vcc, s4, v73
	v_addc_co_u32_e32 v203, vcc, 0, v203, vcc
	global_load_dword v221, v[202:203], off offset:2140
	global_load_dword v222, v[202:203], off offset:2392
	global_load_dword v223, v[202:203], off offset:2644
	global_load_dword v224, v[202:203], off offset:2896
	global_load_dword v225, v[202:203], off offset:3148
	global_load_dword v226, v[202:203], off offset:3400
	global_load_dword v227, v[202:203], off offset:3652
	s_waitcnt lgkmcnt(0)
	v_lshrrev_b32_e32 v73, 16, v114
	v_lshrrev_b32_e32 v220, 16, v115
	v_add_u32_e32 v83, 0xa00, v87
	v_add_u32_e32 v84, 0xc00, v87
	s_mov_b32 s4, 0xbaee
	s_movk_i32 s5, 0x3aee
	s_waitcnt vmcnt(22)
	v_mul_f16_sdwa v86, v73, v82 dst_sel:DWORD dst_unused:UNUSED_PAD src0_sel:DWORD src1_sel:WORD_1
	v_mul_f16_sdwa v85, v220, v204 dst_sel:DWORD dst_unused:UNUSED_PAD src0_sel:DWORD src1_sel:WORD_1
	;; [unrolled: 1-line block ×4, first 2 shown]
	v_fma_f16 v115, v115, v204, -v85
	v_fma_f16 v85, v114, v82, -v86
	v_fma_f16 v73, v73, v82, v203
	v_pack_b32_f16 v73, v85, v73
	ds_write_b32 v87, v73
	ds_read2_b32 v[85:86], v83 offset0:116 offset1:179
	v_fma_f16 v73, v220, v204, v202
	v_pack_b32_f16 v73, v115, v73
	ds_read2_b32 v[114:115], v87 offset0:126 offset1:189
	ds_read2_b32 v[202:203], v84 offset0:114 offset1:177
	s_waitcnt lgkmcnt(2)
	v_lshrrev_b32_e32 v82, 16, v85
	s_waitcnt vmcnt(21)
	v_mul_f16_sdwa v204, v85, v205 dst_sel:DWORD dst_unused:UNUSED_PAD src0_sel:DWORD src1_sel:WORD_1
	v_lshrrev_b32_e32 v220, 16, v86
	s_waitcnt vmcnt(20)
	v_mul_f16_sdwa v228, v86, v206 dst_sel:DWORD dst_unused:UNUSED_PAD src0_sel:DWORD src1_sel:WORD_1
	s_waitcnt lgkmcnt(1)
	v_lshrrev_b32_e32 v229, 16, v114
	s_waitcnt vmcnt(19)
	v_mul_f16_sdwa v230, v114, v207 dst_sel:DWORD dst_unused:UNUSED_PAD src0_sel:DWORD src1_sel:WORD_1
	s_waitcnt lgkmcnt(0)
	v_lshrrev_b32_e32 v231, 16, v202
	v_mul_f16_sdwa v236, v82, v205 dst_sel:DWORD dst_unused:UNUSED_PAD src0_sel:DWORD src1_sel:WORD_1
	v_fma_f16 v82, v82, v205, v204
	v_mul_f16_sdwa v204, v220, v206 dst_sel:DWORD dst_unused:UNUSED_PAD src0_sel:DWORD src1_sel:WORD_1
	v_fma_f16 v220, v220, v206, v228
	v_mul_f16_sdwa v228, v229, v207 dst_sel:DWORD dst_unused:UNUSED_PAD src0_sel:DWORD src1_sel:WORD_1
	s_waitcnt vmcnt(18)
	v_mul_f16_sdwa v232, v202, v208 dst_sel:DWORD dst_unused:UNUSED_PAD src0_sel:DWORD src1_sel:WORD_1
	v_lshrrev_b32_e32 v233, 16, v115
	v_fma_f16 v229, v229, v207, v230
	v_mul_f16_sdwa v230, v231, v208 dst_sel:DWORD dst_unused:UNUSED_PAD src0_sel:DWORD src1_sel:WORD_1
	v_fma_f16 v85, v85, v205, -v236
	v_fma_f16 v114, v114, v207, -v228
	s_waitcnt vmcnt(17)
	v_mul_f16_sdwa v234, v115, v209 dst_sel:DWORD dst_unused:UNUSED_PAD src0_sel:DWORD src1_sel:WORD_1
	v_fma_f16 v231, v231, v208, v232
	v_mul_f16_sdwa v232, v233, v209 dst_sel:DWORD dst_unused:UNUSED_PAD src0_sel:DWORD src1_sel:WORD_1
	v_fma_f16 v86, v86, v206, -v204
	v_fma_f16 v202, v202, v208, -v230
	v_pack_b32_f16 v208, v85, v82
	v_pack_b32_f16 v85, v114, v229
	v_fma_f16 v233, v233, v209, v234
	v_fma_f16 v115, v115, v209, -v232
	v_pack_b32_f16 v82, v86, v220
	v_pack_b32_f16 v86, v202, v231
	ds_write2_b32 v87, v73, v85 offset0:63 offset1:126
	ds_write2_b32 v84, v82, v86 offset0:51 offset1:114
	v_add_u32_e32 v73, 0x200, v87
	v_pack_b32_f16 v204, v115, v233
	ds_read2_b32 v[114:115], v73 offset0:124 offset1:187
	v_lshrrev_b32_e32 v235, 16, v203
	s_waitcnt vmcnt(16)
	v_mul_f16_sdwa v82, v235, v210 dst_sel:DWORD dst_unused:UNUSED_PAD src0_sel:DWORD src1_sel:WORD_1
	v_mul_f16_sdwa v85, v203, v210 dst_sel:DWORD dst_unused:UNUSED_PAD src0_sel:DWORD src1_sel:WORD_1
	v_fma_f16 v82, v203, v210, -v82
	v_fma_f16 v85, v235, v210, v85
	v_pack_b32_f16 v82, v82, v85
	s_waitcnt lgkmcnt(0)
	v_lshrrev_b32_e32 v85, 16, v114
	s_waitcnt vmcnt(15)
	v_mul_f16_sdwa v86, v85, v211 dst_sel:DWORD dst_unused:UNUSED_PAD src0_sel:DWORD src1_sel:WORD_1
	v_fma_f16 v205, v114, v211, -v86
	v_add_u32_e32 v86, 0xe00, v87
	ds_read2_b32 v[202:203], v86 offset0:112 offset1:175
	v_mul_f16_sdwa v114, v114, v211 dst_sel:DWORD dst_unused:UNUSED_PAD src0_sel:DWORD src1_sel:WORD_1
	v_fma_f16 v85, v85, v211, v114
	v_pack_b32_f16 v85, v205, v85
	ds_write2_b32 v87, v204, v85 offset0:189 offset1:252
	s_waitcnt lgkmcnt(1)
	v_lshrrev_b32_e32 v85, 16, v202
	s_waitcnt vmcnt(14)
	v_mul_f16_sdwa v114, v85, v212 dst_sel:DWORD dst_unused:UNUSED_PAD src0_sel:DWORD src1_sel:WORD_1
	v_fma_f16 v114, v202, v212, -v114
	v_mul_f16_sdwa v202, v202, v212 dst_sel:DWORD dst_unused:UNUSED_PAD src0_sel:DWORD src1_sel:WORD_1
	v_fma_f16 v85, v85, v212, v202
	v_pack_b32_f16 v85, v114, v85
	ds_write2_b32 v84, v82, v85 offset0:177 offset1:240
	v_lshrrev_b32_e32 v82, 16, v115
	s_waitcnt vmcnt(13)
	v_mul_f16_sdwa v85, v82, v213 dst_sel:DWORD dst_unused:UNUSED_PAD src0_sel:DWORD src1_sel:WORD_1
	v_mul_f16_sdwa v114, v115, v213 dst_sel:DWORD dst_unused:UNUSED_PAD src0_sel:DWORD src1_sel:WORD_1
	v_fma_f16 v85, v115, v213, -v85
	v_fma_f16 v82, v82, v213, v114
	v_pack_b32_f16 v202, v85, v82
	v_add_u32_e32 v82, 0x400, v87
	ds_read2_b32 v[114:115], v82 offset0:122 offset1:185
	v_lshrrev_b32_e32 v85, 16, v203
	s_waitcnt vmcnt(6)
	v_mul_f16_sdwa v204, v85, v221 dst_sel:DWORD dst_unused:UNUSED_PAD src0_sel:DWORD src1_sel:WORD_1
	v_fma_f16 v204, v203, v221, -v204
	v_mul_f16_sdwa v203, v203, v221 dst_sel:DWORD dst_unused:UNUSED_PAD src0_sel:DWORD src1_sel:WORD_1
	v_fma_f16 v85, v85, v221, v203
	s_waitcnt lgkmcnt(0)
	v_lshrrev_b32_e32 v206, 16, v114
	v_pack_b32_f16 v205, v204, v85
	v_mul_f16_sdwa v85, v206, v214 dst_sel:DWORD dst_unused:UNUSED_PAD src0_sel:DWORD src1_sel:WORD_1
	v_fma_f16 v207, v114, v214, -v85
	v_add_u32_e32 v85, 0x1000, v87
	ds_read2_b32 v[203:204], v85 offset0:110 offset1:173
	v_mul_f16_sdwa v114, v114, v214 dst_sel:DWORD dst_unused:UNUSED_PAD src0_sel:DWORD src1_sel:WORD_1
	v_fma_f16 v114, v206, v214, v114
	v_pack_b32_f16 v114, v207, v114
	ds_write2_b32 v82, v202, v114 offset0:59 offset1:122
	s_waitcnt lgkmcnt(1)
	v_lshrrev_b32_e32 v114, 16, v203
	s_waitcnt vmcnt(5)
	v_mul_f16_sdwa v202, v114, v222 dst_sel:DWORD dst_unused:UNUSED_PAD src0_sel:DWORD src1_sel:WORD_1
	v_fma_f16 v202, v203, v222, -v202
	v_mul_f16_sdwa v203, v203, v222 dst_sel:DWORD dst_unused:UNUSED_PAD src0_sel:DWORD src1_sel:WORD_1
	v_fma_f16 v114, v114, v222, v203
	v_pack_b32_f16 v114, v202, v114
	ds_write2_b32 v85, v205, v114 offset0:47 offset1:110
	v_lshrrev_b32_e32 v114, 16, v115
	v_mul_f16_sdwa v202, v114, v215 dst_sel:DWORD dst_unused:UNUSED_PAD src0_sel:DWORD src1_sel:WORD_1
	v_fma_f16 v202, v115, v215, -v202
	v_mul_f16_sdwa v115, v115, v215 dst_sel:DWORD dst_unused:UNUSED_PAD src0_sel:DWORD src1_sel:WORD_1
	v_fma_f16 v114, v114, v215, v115
	v_add_u32_e32 v203, 0x600, v87
	v_pack_b32_f16 v206, v202, v114
	ds_read2_b32 v[114:115], v203 offset0:120 offset1:183
	v_lshrrev_b32_e32 v202, 16, v204
	s_waitcnt vmcnt(4)
	v_mul_f16_sdwa v205, v202, v223 dst_sel:DWORD dst_unused:UNUSED_PAD src0_sel:DWORD src1_sel:WORD_1
	v_fma_f16 v205, v204, v223, -v205
	v_mul_f16_sdwa v204, v204, v223 dst_sel:DWORD dst_unused:UNUSED_PAD src0_sel:DWORD src1_sel:WORD_1
	v_fma_f16 v202, v202, v223, v204
	s_waitcnt lgkmcnt(0)
	v_lshrrev_b32_e32 v209, 16, v114
	v_pack_b32_f16 v207, v205, v202
	v_mul_f16_sdwa v202, v209, v216 dst_sel:DWORD dst_unused:UNUSED_PAD src0_sel:DWORD src1_sel:WORD_1
	v_fma_f16 v210, v114, v216, -v202
	v_add_u32_e32 v202, 0x1200, v87
	ds_read2_b32 v[204:205], v202 offset0:108 offset1:171
	v_mul_f16_sdwa v114, v114, v216 dst_sel:DWORD dst_unused:UNUSED_PAD src0_sel:DWORD src1_sel:WORD_1
	v_fma_f16 v114, v209, v216, v114
	v_pack_b32_f16 v114, v210, v114
	ds_write2_b32 v82, v206, v114 offset0:185 offset1:248
	s_waitcnt lgkmcnt(1)
	v_lshrrev_b32_e32 v114, 16, v204
	s_waitcnt vmcnt(3)
	v_mul_f16_sdwa v206, v114, v224 dst_sel:DWORD dst_unused:UNUSED_PAD src0_sel:DWORD src1_sel:WORD_1
	v_fma_f16 v206, v204, v224, -v206
	v_mul_f16_sdwa v204, v204, v224 dst_sel:DWORD dst_unused:UNUSED_PAD src0_sel:DWORD src1_sel:WORD_1
	v_fma_f16 v114, v114, v224, v204
	v_pack_b32_f16 v114, v206, v114
	ds_write2_b32 v85, v207, v114 offset0:173 offset1:236
	v_lshrrev_b32_e32 v114, 16, v115
	v_mul_f16_sdwa v204, v114, v217 dst_sel:DWORD dst_unused:UNUSED_PAD src0_sel:DWORD src1_sel:WORD_1
	v_fma_f16 v204, v115, v217, -v204
	v_mul_f16_sdwa v115, v115, v217 dst_sel:DWORD dst_unused:UNUSED_PAD src0_sel:DWORD src1_sel:WORD_1
	v_fma_f16 v114, v114, v217, v115
	v_pack_b32_f16 v209, v204, v114
	v_add_u32_e32 v114, 0x800, v87
	ds_read2_b32 v[206:207], v114 offset0:118 offset1:181
	v_lshrrev_b32_e32 v115, 16, v205
	s_waitcnt vmcnt(2)
	v_mul_f16_sdwa v204, v115, v225 dst_sel:DWORD dst_unused:UNUSED_PAD src0_sel:DWORD src1_sel:WORD_1
	v_fma_f16 v204, v205, v225, -v204
	v_mul_f16_sdwa v205, v205, v225 dst_sel:DWORD dst_unused:UNUSED_PAD src0_sel:DWORD src1_sel:WORD_1
	v_fma_f16 v115, v115, v225, v205
	s_waitcnt lgkmcnt(0)
	v_lshrrev_b32_e32 v211, 16, v206
	v_pack_b32_f16 v210, v204, v115
	v_mul_f16_sdwa v115, v211, v218 dst_sel:DWORD dst_unused:UNUSED_PAD src0_sel:DWORD src1_sel:WORD_1
	v_fma_f16 v212, v206, v218, -v115
	v_add_u32_e32 v115, 0x1400, v87
	ds_read2_b32 v[204:205], v115 offset0:106 offset1:169
	v_mul_f16_sdwa v206, v206, v218 dst_sel:DWORD dst_unused:UNUSED_PAD src0_sel:DWORD src1_sel:WORD_1
	v_fma_f16 v206, v211, v218, v206
	v_pack_b32_f16 v206, v212, v206
	ds_write2_b32 v114, v209, v206 offset0:55 offset1:118
	s_waitcnt lgkmcnt(1)
	v_lshrrev_b32_e32 v206, 16, v204
	s_waitcnt vmcnt(1)
	v_mul_f16_sdwa v209, v206, v226 dst_sel:DWORD dst_unused:UNUSED_PAD src0_sel:DWORD src1_sel:WORD_1
	v_fma_f16 v209, v204, v226, -v209
	v_mul_f16_sdwa v204, v204, v226 dst_sel:DWORD dst_unused:UNUSED_PAD src0_sel:DWORD src1_sel:WORD_1
	v_fma_f16 v204, v206, v226, v204
	v_pack_b32_f16 v204, v209, v204
	ds_write2_b32 v115, v210, v204 offset0:43 offset1:106
	v_lshrrev_b32_e32 v204, 16, v207
	v_mul_f16_sdwa v206, v204, v219 dst_sel:DWORD dst_unused:UNUSED_PAD src0_sel:DWORD src1_sel:WORD_1
	v_fma_f16 v206, v207, v219, -v206
	v_mul_f16_sdwa v207, v207, v219 dst_sel:DWORD dst_unused:UNUSED_PAD src0_sel:DWORD src1_sel:WORD_1
	v_fma_f16 v204, v204, v219, v207
	v_pack_b32_f16 v204, v206, v204
	ds_write2_b32 v114, v204, v208 offset0:181 offset1:244
	v_lshrrev_b32_e32 v204, 16, v205
	s_waitcnt vmcnt(0)
	v_mul_f16_sdwa v206, v204, v227 dst_sel:DWORD dst_unused:UNUSED_PAD src0_sel:DWORD src1_sel:WORD_1
	v_fma_f16 v206, v205, v227, -v206
	v_mul_f16_sdwa v205, v205, v227 dst_sel:DWORD dst_unused:UNUSED_PAD src0_sel:DWORD src1_sel:WORD_1
	v_fma_f16 v204, v204, v227, v205
	v_pack_b32_f16 v204, v206, v204
	ds_write_b32 v87, v204 offset:5796
	s_waitcnt lgkmcnt(0)
	; wave barrier
	s_waitcnt lgkmcnt(0)
	ds_read2_b32 v[204:205], v87 offset1:63
	ds_read2_b32 v[206:207], v83 offset0:116 offset1:179
	ds_read2_b32 v[208:209], v87 offset0:126 offset1:189
	;; [unrolled: 1-line block ×3, first 2 shown]
	s_waitcnt lgkmcnt(2)
	v_pk_add_f16 v213, v204, v206 neg_lo:[0,1] neg_hi:[0,1]
	v_pk_add_f16 v206, v205, v207 neg_lo:[0,1] neg_hi:[0,1]
	s_waitcnt lgkmcnt(0)
	v_pk_add_f16 v215, v208, v210 neg_lo:[0,1] neg_hi:[0,1]
	v_pk_fma_f16 v214, v208, 2.0, v215 op_sel_hi:[1,0,1] neg_lo:[0,0,1] neg_hi:[0,0,1]
	ds_read2_b32 v[207:208], v73 offset0:124 offset1:187
	ds_read2_b32 v[216:217], v86 offset0:112 offset1:175
	ds_read2_b32 v[218:219], v82 offset0:122 offset1:185
	ds_read2_b32 v[220:221], v85 offset0:110 offset1:173
	ds_read2_b32 v[224:225], v203 offset0:120 offset1:183
	ds_read2_b32 v[226:227], v202 offset0:108 offset1:171
	ds_read2_b32 v[228:229], v114 offset0:118 offset1:181
	ds_read2_b32 v[230:231], v115 offset0:106 offset1:169
	v_pk_fma_f16 v212, v204, 2.0, v213 op_sel_hi:[1,0,1] neg_lo:[0,0,1] neg_hi:[0,0,1]
	s_waitcnt lgkmcnt(6)
	v_pk_add_f16 v217, v208, v217 neg_lo:[0,1] neg_hi:[0,1]
	v_pk_add_f16 v210, v209, v211 neg_lo:[0,1] neg_hi:[0,1]
	;; [unrolled: 1-line block ×3, first 2 shown]
	s_waitcnt lgkmcnt(0)
	v_pk_add_f16 v235, v228, v230 neg_lo:[0,1] neg_hi:[0,1]
	v_pk_fma_f16 v216, v208, 2.0, v217 op_sel_hi:[1,0,1] neg_lo:[0,0,1] neg_hi:[0,0,1]
	v_pk_add_f16 v208, v218, v220 neg_lo:[0,1] neg_hi:[0,1]
	v_pk_add_f16 v220, v219, v221 neg_lo:[0,1] neg_hi:[0,1]
	;; [unrolled: 1-line block ×4, first 2 shown]
	v_pk_fma_f16 v234, v228, 2.0, v235 op_sel_hi:[1,0,1] neg_lo:[0,0,1] neg_hi:[0,0,1]
	v_pk_add_f16 v228, v229, v231 neg_lo:[0,1] neg_hi:[0,1]
	v_pk_fma_f16 v205, v205, 2.0, v206 op_sel_hi:[1,0,1] neg_lo:[0,0,1] neg_hi:[0,0,1]
	v_pk_fma_f16 v209, v209, 2.0, v210 op_sel_hi:[1,0,1] neg_lo:[0,0,1] neg_hi:[0,0,1]
	;; [unrolled: 1-line block ×8, first 2 shown]
	s_waitcnt lgkmcnt(0)
	; wave barrier
	ds_write_b64 v113, v[212:213]
	ds_write_b64 v145, v[205:206]
	;; [unrolled: 1-line block ×12, first 2 shown]
	s_waitcnt lgkmcnt(0)
	; wave barrier
	s_waitcnt lgkmcnt(0)
	ds_read2_b32 v[145:146], v87 offset1:63
	ds_read2_b32 v[148:149], v83 offset0:116 offset1:179
	ds_read2_b32 v[198:199], v84 offset0:114 offset1:177
	;; [unrolled: 1-line block ×5, first 2 shown]
	s_waitcnt lgkmcnt(4)
	v_lshrrev_b32_e32 v159, 16, v148
	v_mul_f16_sdwa v240, v116, v159 dst_sel:DWORD dst_unused:UNUSED_PAD src0_sel:WORD_1 src1_sel:DWORD
	v_lshrrev_b32_e32 v219, 16, v149
	v_fma_f16 v240, v116, v148, v240
	v_mul_f16_sdwa v148, v116, v148 dst_sel:DWORD dst_unused:UNUSED_PAD src0_sel:WORD_1 src1_sel:DWORD
	v_fma_f16 v148, v116, v159, -v148
	v_mul_f16_sdwa v159, v119, v219 dst_sel:DWORD dst_unused:UNUSED_PAD src0_sel:WORD_1 src1_sel:DWORD
	s_waitcnt lgkmcnt(3)
	v_lshrrev_b32_e32 v223, 16, v199
	v_fma_f16 v159, v131, v149, v159
	v_mul_f16_sdwa v149, v119, v149 dst_sel:DWORD dst_unused:UNUSED_PAD src0_sel:WORD_1 src1_sel:DWORD
	s_waitcnt lgkmcnt(2)
	v_lshrrev_b32_e32 v225, 16, v204
	v_fma_f16 v131, v131, v219, -v149
	v_mul_f16_e32 v219, v126, v223
	v_mul_f16_e32 v126, v126, v199
	ds_read2_b32 v[151:152], v87 offset0:126 offset1:189
	ds_read2_b32 v[200:201], v73 offset0:124 offset1:187
	;; [unrolled: 1-line block ×3, first 2 shown]
	v_lshrrev_b32_e32 v227, 16, v205
	ds_read2_b32 v[210:211], v203 offset0:120 offset1:183
	ds_read2_b32 v[214:215], v114 offset0:118 offset1:181
	;; [unrolled: 1-line block ×3, first 2 shown]
	v_fma_f16 v219, v128, v199, v219
	v_fma_f16 v126, v128, v223, -v126
	v_mul_f16_sdwa v128, v116, v225 dst_sel:DWORD dst_unused:UNUSED_PAD src0_sel:WORD_1 src1_sel:DWORD
	s_waitcnt lgkmcnt(7)
	v_lshrrev_b32_e32 v229, 16, v208
	v_fma_f16 v128, v116, v204, v128
	v_mul_f16_sdwa v199, v116, v204 dst_sel:DWORD dst_unused:UNUSED_PAD src0_sel:WORD_1 src1_sel:DWORD
	v_mul_f16_e32 v204, v124, v227
	v_mul_f16_e32 v124, v124, v205
	v_lshrrev_b32_e32 v231, 16, v209
	v_fma_f16 v204, v123, v205, v204
	v_fma_f16 v123, v123, v227, -v124
	v_mul_f16_sdwa v124, v116, v229 dst_sel:DWORD dst_unused:UNUSED_PAD src0_sel:WORD_1 src1_sel:DWORD
	s_waitcnt lgkmcnt(6)
	v_lshrrev_b32_e32 v233, 16, v212
	v_fma_f16 v124, v116, v208, v124
	v_mul_f16_sdwa v205, v116, v208 dst_sel:DWORD dst_unused:UNUSED_PAD src0_sel:WORD_1 src1_sel:DWORD
	v_mul_f16_e32 v208, v134, v231
	v_mul_f16_e32 v134, v134, v209
	v_lshrrev_b32_e32 v221, 16, v198
	v_lshrrev_b32_e32 v235, 16, v213
	v_fma_f16 v208, v132, v209, v208
	v_fma_f16 v132, v132, v231, -v134
	v_mul_f16_sdwa v134, v116, v233 dst_sel:DWORD dst_unused:UNUSED_PAD src0_sel:WORD_1 src1_sel:DWORD
	s_waitcnt lgkmcnt(0)
	v_lshrrev_b32_e32 v237, 16, v216
	v_mul_f16_sdwa v149, v116, v221 dst_sel:DWORD dst_unused:UNUSED_PAD src0_sel:WORD_1 src1_sel:DWORD
	v_fma_f16 v134, v116, v212, v134
	v_mul_f16_sdwa v209, v116, v212 dst_sel:DWORD dst_unused:UNUSED_PAD src0_sel:WORD_1 src1_sel:DWORD
	v_mul_f16_e32 v212, v130, v235
	v_mul_f16_e32 v130, v130, v213
	v_lshrrev_b32_e32 v239, 16, v217
	v_fma_f16 v149, v116, v198, v149
	v_mul_f16_sdwa v198, v116, v198 dst_sel:DWORD dst_unused:UNUSED_PAD src0_sel:WORD_1 src1_sel:DWORD
	v_fma_f16 v212, v129, v213, v212
	v_fma_f16 v129, v129, v235, -v130
	v_mul_f16_sdwa v130, v116, v237 dst_sel:DWORD dst_unused:UNUSED_PAD src0_sel:WORD_1 src1_sel:DWORD
	v_mul_f16_sdwa v213, v116, v216 dst_sel:DWORD dst_unused:UNUSED_PAD src0_sel:WORD_1 src1_sel:DWORD
	v_lshrrev_b32_e32 v113, 16, v145
	v_fma_f16 v198, v116, v221, -v198
	v_fma_f16 v199, v116, v225, -v199
	;; [unrolled: 1-line block ×4, first 2 shown]
	v_fma_f16 v130, v116, v216, v130
	v_fma_f16 v116, v116, v237, -v213
	v_mul_f16_e32 v213, v118, v239
	v_mul_f16_e32 v118, v118, v217
	v_lshrrev_b32_e32 v218, 16, v146
	v_fma_f16 v213, v119, v217, v213
	v_fma_f16 v118, v119, v239, -v118
	v_sub_f16_e32 v119, v145, v240
	v_sub_f16_e32 v148, v113, v148
	v_lshrrev_b32_e32 v220, 16, v151
	v_fma_f16 v145, v145, 2.0, -v119
	v_fma_f16 v113, v113, 2.0, -v148
	v_sub_f16_e32 v159, v146, v159
	v_sub_f16_e32 v131, v218, v131
	v_lshrrev_b32_e32 v222, 16, v152
	v_fma_f16 v146, v146, 2.0, -v159
	v_fma_f16 v216, v218, 2.0, -v131
	v_sub_f16_e32 v149, v151, v149
	v_sub_f16_e32 v198, v220, v198
	v_pack_b32_f16 v113, v145, v113
	v_pack_b32_f16 v119, v119, v148
	v_lshrrev_b32_e32 v224, 16, v200
	v_fma_f16 v151, v151, 2.0, -v149
	v_fma_f16 v217, v220, 2.0, -v198
	v_sub_f16_e32 v218, v152, v219
	v_sub_f16_e32 v126, v222, v126
	s_waitcnt lgkmcnt(0)
	; wave barrier
	ds_write2_b32 v117, v113, v119 offset1:2
	v_pack_b32_f16 v113, v146, v216
	v_pack_b32_f16 v117, v159, v131
	v_lshrrev_b32_e32 v226, 16, v201
	v_fma_f16 v152, v152, 2.0, -v218
	v_fma_f16 v219, v222, 2.0, -v126
	v_sub_f16_e32 v128, v200, v128
	v_sub_f16_e32 v199, v224, v199
	ds_write2_b32 v120, v113, v117 offset1:2
	v_pack_b32_f16 v113, v151, v217
	v_pack_b32_f16 v117, v149, v198
	v_lshrrev_b32_e32 v228, 16, v206
	v_fma_f16 v200, v200, 2.0, -v128
	v_fma_f16 v220, v224, 2.0, -v199
	v_sub_f16_e32 v204, v201, v204
	v_sub_f16_e32 v123, v226, v123
	;; [unrolled: 8-line block ×7, first 2 shown]
	ds_write2_b32 v156, v113, v117 offset1:2
	v_pack_b32_f16 v113, v210, v224
	v_pack_b32_f16 v117, v134, v209
	v_fma_f16 v214, v214, 2.0, -v130
	v_fma_f16 v226, v236, 2.0, -v116
	v_sub_f16_e32 v213, v215, v213
	v_sub_f16_e32 v118, v238, v118
	ds_write2_b32 v163, v113, v117 offset1:2
	v_pack_b32_f16 v113, v211, v225
	v_pack_b32_f16 v117, v212, v129
	v_fma_f16 v215, v215, 2.0, -v213
	v_fma_f16 v227, v238, 2.0, -v118
	ds_write2_b32 v171, v113, v117 offset1:2
	v_pack_b32_f16 v113, v214, v226
	v_pack_b32_f16 v116, v130, v116
	ds_write2_b32 v174, v113, v116 offset1:2
	v_pack_b32_f16 v113, v215, v227
	v_pack_b32_f16 v116, v213, v118
	ds_write2_b32 v178, v113, v116 offset1:2
	s_waitcnt lgkmcnt(0)
	; wave barrier
	s_waitcnt lgkmcnt(0)
	ds_read2_b32 v[116:117], v87 offset1:63
	ds_read2_b32 v[118:119], v83 offset0:116 offset1:179
	ds_read2_b32 v[126:127], v84 offset0:114 offset1:177
	;; [unrolled: 1-line block ×5, first 2 shown]
	s_waitcnt lgkmcnt(4)
	v_lshrrev_b32_e32 v120, 16, v118
	v_mul_f16_sdwa v216, v136, v120 dst_sel:DWORD dst_unused:UNUSED_PAD src0_sel:WORD_1 src1_sel:DWORD
	v_lshrrev_b32_e32 v132, 16, v119
	v_fma_f16 v216, v136, v118, v216
	v_mul_f16_sdwa v118, v136, v118 dst_sel:DWORD dst_unused:UNUSED_PAD src0_sel:WORD_1 src1_sel:DWORD
	v_fma_f16 v118, v136, v120, -v118
	v_mul_f16_sdwa v120, v137, v132 dst_sel:DWORD dst_unused:UNUSED_PAD src0_sel:WORD_1 src1_sel:DWORD
	s_waitcnt lgkmcnt(3)
	v_lshrrev_b32_e32 v152, 16, v126
	v_fma_f16 v120, v154, v119, v120
	v_mul_f16_sdwa v119, v137, v119 dst_sel:DWORD dst_unused:UNUSED_PAD src0_sel:WORD_1 src1_sel:DWORD
	v_fma_f16 v119, v154, v132, -v119
	v_mul_f16_sdwa v132, v140, v152 dst_sel:DWORD dst_unused:UNUSED_PAD src0_sel:WORD_1 src1_sel:DWORD
	v_lshrrev_b32_e32 v159, 16, v127
	v_fma_f16 v132, v157, v126, v132
	v_mul_f16_sdwa v126, v140, v126 dst_sel:DWORD dst_unused:UNUSED_PAD src0_sel:WORD_1 src1_sel:DWORD
	v_fma_f16 v126, v157, v152, -v126
	v_mul_f16_sdwa v152, v141, v159 dst_sel:DWORD dst_unused:UNUSED_PAD src0_sel:WORD_1 src1_sel:DWORD
	ds_read2_b32 v[122:123], v87 offset0:126 offset1:189
	ds_read2_b32 v[128:129], v73 offset0:124 offset1:187
	;; [unrolled: 1-line block ×4, first 2 shown]
	s_waitcnt lgkmcnt(6)
	v_lshrrev_b32_e32 v207, 16, v146
	ds_read2_b32 v[198:199], v114 offset0:118 offset1:181
	ds_read2_b32 v[200:201], v115 offset0:106 offset1:169
	v_fma_f16 v152, v155, v127, v152
	v_mul_f16_sdwa v127, v141, v127 dst_sel:DWORD dst_unused:UNUSED_PAD src0_sel:WORD_1 src1_sel:DWORD
	v_fma_f16 v127, v155, v159, -v127
	v_mul_f16_e32 v159, v162, v207
	s_waitcnt lgkmcnt(7)
	v_lshrrev_b32_e32 v171, 16, v130
	s_waitcnt lgkmcnt(6)
	v_lshrrev_b32_e32 v209, 16, v150
	v_fma_f16 v159, v161, v146, v159
	v_mul_f16_e32 v146, v162, v146
	v_mul_f16_sdwa v154, v136, v171 dst_sel:DWORD dst_unused:UNUSED_PAD src0_sel:WORD_1 src1_sel:DWORD
	v_fma_f16 v146, v161, v207, -v146
	v_mul_f16_sdwa v161, v136, v209 dst_sel:DWORD dst_unused:UNUSED_PAD src0_sel:WORD_1 src1_sel:DWORD
	v_lshrrev_b32_e32 v211, 16, v151
	v_fma_f16 v154, v136, v130, v154
	v_mul_f16_sdwa v130, v136, v130 dst_sel:DWORD dst_unused:UNUSED_PAD src0_sel:WORD_1 src1_sel:DWORD
	v_fma_f16 v161, v136, v150, v161
	v_mul_f16_sdwa v150, v136, v150 dst_sel:DWORD dst_unused:UNUSED_PAD src0_sel:WORD_1 src1_sel:DWORD
	s_waitcnt lgkmcnt(0)
	v_lshrrev_b32_e32 v213, 16, v200
	v_fma_f16 v130, v136, v171, -v130
	v_fma_f16 v136, v136, v209, -v150
	v_mul_f16_e32 v150, v144, v211
	v_mul_f16_e32 v144, v144, v151
	v_lshrrev_b32_e32 v215, 16, v201
	v_fma_f16 v150, v137, v151, v150
	v_fma_f16 v137, v137, v211, -v144
	v_mul_f16_e32 v144, v139, v213
	v_mul_f16_e32 v139, v139, v200
	v_lshrrev_b32_e32 v113, 16, v116
	v_fma_f16 v144, v140, v200, v144
	;; [unrolled: 5-line block ×3, first 2 shown]
	v_fma_f16 v141, v141, v215, -v151
	v_sub_f16_e32 v151, v116, v216
	v_sub_f16_e32 v118, v113, v118
	v_lshrrev_b32_e32 v142, 16, v122
	v_lshrrev_b32_e32 v178, 16, v131
	v_fma_f16 v116, v116, 2.0, -v151
	v_fma_f16 v113, v113, 2.0, -v118
	v_sub_f16_e32 v120, v117, v120
	v_sub_f16_e32 v119, v124, v119
	v_lshrrev_b32_e32 v156, 16, v123
	v_lshrrev_b32_e32 v205, 16, v145
	v_mul_f16_e32 v155, v170, v178
	v_fma_f16 v117, v117, 2.0, -v120
	v_fma_f16 v124, v124, 2.0, -v119
	v_sub_f16_e32 v132, v122, v132
	v_sub_f16_e32 v126, v142, v126
	v_pack_b32_f16 v113, v116, v113
	v_pack_b32_f16 v116, v151, v118
	v_lshrrev_b32_e32 v163, 16, v128
	v_fma_f16 v155, v169, v131, v155
	v_mul_f16_e32 v131, v170, v131
	v_mul_f16_e32 v157, v164, v205
	v_fma_f16 v122, v122, 2.0, -v132
	v_fma_f16 v142, v142, 2.0, -v126
	v_sub_f16_e32 v152, v123, v152
	v_sub_f16_e32 v127, v156, v127
	s_waitcnt lgkmcnt(0)
	; wave barrier
	ds_write2_b32 v138, v113, v116 offset1:4
	v_pack_b32_f16 v113, v117, v124
	v_pack_b32_f16 v116, v120, v119
	v_lshrrev_b32_e32 v174, 16, v129
	v_fma_f16 v131, v169, v178, -v131
	v_fma_f16 v157, v168, v145, v157
	v_mul_f16_e32 v145, v164, v145
	v_fma_f16 v123, v123, 2.0, -v152
	v_fma_f16 v156, v156, 2.0, -v127
	v_sub_f16_e32 v154, v128, v154
	v_sub_f16_e32 v130, v163, v130
	ds_write2_b32 v143, v113, v116 offset1:4
	v_pack_b32_f16 v113, v122, v142
	v_pack_b32_f16 v116, v132, v126
	v_lshrrev_b32_e32 v204, 16, v134
	v_fma_f16 v145, v168, v205, -v145
	v_fma_f16 v128, v128, 2.0, -v154
	v_fma_f16 v158, v163, 2.0, -v130
	v_sub_f16_e32 v155, v129, v155
	v_sub_f16_e32 v131, v174, v131
	ds_write2_b32 v153, v113, v116 offset1:4
	v_pack_b32_f16 v113, v123, v156
	v_pack_b32_f16 v116, v152, v127
	v_lshrrev_b32_e32 v206, 16, v135
	v_fma_f16 v129, v129, 2.0, -v155
	v_fma_f16 v162, v174, 2.0, -v131
	v_sub_f16_e32 v157, v134, v157
	v_sub_f16_e32 v145, v204, v145
	ds_write2_b32 v160, v113, v116 offset1:4
	v_pack_b32_f16 v113, v128, v158
	v_pack_b32_f16 v116, v154, v130
	v_lshrrev_b32_e32 v208, 16, v148
	;; [unrolled: 8-line block ×5, first 2 shown]
	v_fma_f16 v149, v149, 2.0, -v150
	v_fma_f16 v169, v210, 2.0, -v137
	v_sub_f16_e32 v144, v198, v144
	v_sub_f16_e32 v139, v212, v139
	ds_write2_b32 v177, v113, v116 offset1:4
	v_pack_b32_f16 v113, v148, v168
	v_pack_b32_f16 v116, v161, v136
	v_fma_f16 v170, v198, 2.0, -v144
	v_fma_f16 v171, v212, 2.0, -v139
	v_sub_f16_e32 v140, v199, v140
	v_sub_f16_e32 v141, v214, v141
	ds_write2_b32 v179, v113, v116 offset1:4
	v_pack_b32_f16 v113, v149, v169
	v_pack_b32_f16 v116, v150, v137
	v_fma_f16 v174, v199, 2.0, -v140
	v_fma_f16 v178, v214, 2.0, -v141
	ds_write2_b32 v182, v113, v116 offset1:4
	v_pack_b32_f16 v113, v170, v171
	v_pack_b32_f16 v116, v144, v139
	ds_write2_b32 v183, v113, v116 offset1:4
	v_pack_b32_f16 v113, v174, v178
	v_pack_b32_f16 v116, v140, v141
	ds_write2_b32 v186, v113, v116 offset1:4
	s_waitcnt lgkmcnt(0)
	; wave barrier
	s_waitcnt lgkmcnt(0)
	ds_read2_b32 v[116:117], v87 offset1:63
	ds_read2_b32 v[118:119], v203 offset0:120 offset1:183
	ds_read2_b32 v[122:123], v86 offset0:112 offset1:175
	ds_read2_b32 v[126:127], v87 offset0:126 offset1:189
	ds_read2_b32 v[128:129], v114 offset0:118 offset1:181
	ds_read2_b32 v[130:131], v85 offset0:110 offset1:173
	ds_read2_b32 v[134:135], v73 offset0:124 offset1:187
	ds_read2_b32 v[136:137], v83 offset0:116 offset1:179
	ds_read2_b32 v[138:139], v202 offset0:108 offset1:171
	ds_read2_b32 v[140:141], v82 offset0:122 offset1:185
	ds_read2_b32 v[142:143], v84 offset0:114 offset1:177
	ds_read2_b32 v[144:145], v115 offset0:106 offset1:169
	s_waitcnt lgkmcnt(10)
	v_lshrrev_b32_e32 v120, 16, v118
	v_mul_f16_sdwa v169, v23, v120 dst_sel:DWORD dst_unused:UNUSED_PAD src0_sel:WORD_1 src1_sel:DWORD
	s_waitcnt lgkmcnt(9)
	v_lshrrev_b32_e32 v124, 16, v122
	v_fma_f16 v169, v23, v118, v169
	v_mul_f16_sdwa v118, v23, v118 dst_sel:DWORD dst_unused:UNUSED_PAD src0_sel:WORD_1 src1_sel:DWORD
	v_lshrrev_b32_e32 v146, 16, v119
	v_fma_f16 v23, v23, v120, -v118
	v_mul_f16_sdwa v118, v24, v124 dst_sel:DWORD dst_unused:UNUSED_PAD src0_sel:WORD_1 src1_sel:DWORD
	v_mul_f16_sdwa v120, v24, v122 dst_sel:DWORD dst_unused:UNUSED_PAD src0_sel:WORD_1 src1_sel:DWORD
	v_fma_f16 v118, v24, v122, v118
	v_fma_f16 v24, v24, v124, -v120
	v_mul_f16_sdwa v120, v19, v146 dst_sel:DWORD dst_unused:UNUSED_PAD src0_sel:WORD_1 src1_sel:DWORD
	v_lshrrev_b32_e32 v148, 16, v123
	v_fma_f16 v120, v19, v119, v120
	v_mul_f16_sdwa v119, v19, v119 dst_sel:DWORD dst_unused:UNUSED_PAD src0_sel:WORD_1 src1_sel:DWORD
	s_waitcnt lgkmcnt(7)
	v_lshrrev_b32_e32 v150, 16, v128
	v_fma_f16 v19, v19, v146, -v119
	v_mul_f16_sdwa v119, v20, v148 dst_sel:DWORD dst_unused:UNUSED_PAD src0_sel:WORD_1 src1_sel:DWORD
	v_mul_f16_sdwa v122, v20, v123 dst_sel:DWORD dst_unused:UNUSED_PAD src0_sel:WORD_1 src1_sel:DWORD
	s_waitcnt lgkmcnt(6)
	v_lshrrev_b32_e32 v151, 16, v130
	v_fma_f16 v119, v20, v123, v119
	v_fma_f16 v20, v20, v148, -v122
	v_mul_f16_sdwa v122, v21, v150 dst_sel:DWORD dst_unused:UNUSED_PAD src0_sel:WORD_1 src1_sel:DWORD
	v_mul_f16_sdwa v123, v21, v128 dst_sel:DWORD dst_unused:UNUSED_PAD src0_sel:WORD_1 src1_sel:DWORD
	v_lshrrev_b32_e32 v153, 16, v129
	v_fma_f16 v122, v21, v128, v122
	v_fma_f16 v21, v21, v150, -v123
	v_mul_f16_sdwa v123, v22, v151 dst_sel:DWORD dst_unused:UNUSED_PAD src0_sel:WORD_1 src1_sel:DWORD
	v_mul_f16_sdwa v124, v22, v130 dst_sel:DWORD dst_unused:UNUSED_PAD src0_sel:WORD_1 src1_sel:DWORD
	;; [unrolled: 5-line block ×3, first 2 shown]
	s_waitcnt lgkmcnt(4)
	v_lshrrev_b32_e32 v156, 16, v136
	v_fma_f16 v124, v17, v129, v124
	v_fma_f16 v17, v17, v153, -v128
	v_mul_f16_sdwa v128, v18, v154 dst_sel:DWORD dst_unused:UNUSED_PAD src0_sel:WORD_1 src1_sel:DWORD
	v_mul_f16_sdwa v129, v18, v131 dst_sel:DWORD dst_unused:UNUSED_PAD src0_sel:WORD_1 src1_sel:DWORD
	s_waitcnt lgkmcnt(3)
	v_lshrrev_b32_e32 v157, 16, v138
	v_fma_f16 v128, v18, v131, v128
	v_fma_f16 v18, v18, v154, -v129
	v_mul_f16_sdwa v129, v31, v156 dst_sel:DWORD dst_unused:UNUSED_PAD src0_sel:WORD_1 src1_sel:DWORD
	v_mul_f16_sdwa v130, v31, v136 dst_sel:DWORD dst_unused:UNUSED_PAD src0_sel:WORD_1 src1_sel:DWORD
	v_lshrrev_b32_e32 v159, 16, v137
	v_fma_f16 v129, v31, v136, v129
	v_fma_f16 v31, v31, v156, -v130
	v_mul_f16_sdwa v130, v32, v157 dst_sel:DWORD dst_unused:UNUSED_PAD src0_sel:WORD_1 src1_sel:DWORD
	v_mul_f16_sdwa v131, v32, v138 dst_sel:DWORD dst_unused:UNUSED_PAD src0_sel:WORD_1 src1_sel:DWORD
	;; [unrolled: 5-line block ×3, first 2 shown]
	s_waitcnt lgkmcnt(1)
	v_lshrrev_b32_e32 v162, 16, v142
	v_fma_f16 v131, v29, v137, v131
	v_fma_f16 v29, v29, v159, -v136
	v_mul_f16_sdwa v136, v30, v160 dst_sel:DWORD dst_unused:UNUSED_PAD src0_sel:WORD_1 src1_sel:DWORD
	v_mul_f16_sdwa v137, v30, v139 dst_sel:DWORD dst_unused:UNUSED_PAD src0_sel:WORD_1 src1_sel:DWORD
	s_waitcnt lgkmcnt(0)
	v_lshrrev_b32_e32 v163, 16, v144
	v_fma_f16 v136, v30, v139, v136
	v_fma_f16 v30, v30, v160, -v137
	v_mul_f16_sdwa v137, v27, v162 dst_sel:DWORD dst_unused:UNUSED_PAD src0_sel:WORD_1 src1_sel:DWORD
	v_mul_f16_sdwa v138, v27, v142 dst_sel:DWORD dst_unused:UNUSED_PAD src0_sel:WORD_1 src1_sel:DWORD
	v_lshrrev_b32_e32 v167, 16, v143
	v_fma_f16 v137, v27, v142, v137
	v_fma_f16 v27, v27, v162, -v138
	v_mul_f16_sdwa v138, v28, v163 dst_sel:DWORD dst_unused:UNUSED_PAD src0_sel:WORD_1 src1_sel:DWORD
	v_mul_f16_sdwa v139, v28, v144 dst_sel:DWORD dst_unused:UNUSED_PAD src0_sel:WORD_1 src1_sel:DWORD
	;; [unrolled: 5-line block ×3, first 2 shown]
	v_fma_f16 v139, v25, v143, v139
	v_fma_f16 v25, v25, v167, -v142
	v_mul_f16_sdwa v142, v26, v168 dst_sel:DWORD dst_unused:UNUSED_PAD src0_sel:WORD_1 src1_sel:DWORD
	v_mul_f16_sdwa v143, v26, v145 dst_sel:DWORD dst_unused:UNUSED_PAD src0_sel:WORD_1 src1_sel:DWORD
	v_add_f16_e32 v144, v169, v118
	v_lshrrev_b32_e32 v113, 16, v116
	v_fma_f16 v142, v26, v145, v142
	v_fma_f16 v26, v26, v168, -v143
	v_add_f16_e32 v143, v116, v169
	v_fma_f16 v116, v144, -0.5, v116
	v_sub_f16_e32 v144, v23, v24
	v_fma_f16 v145, v144, s4, v116
	v_fma_f16 v116, v144, s5, v116
	v_add_f16_e32 v144, v113, v23
	v_add_f16_e32 v23, v23, v24
	;; [unrolled: 1-line block ×4, first 2 shown]
	v_fma_f16 v23, v23, -0.5, v113
	v_sub_f16_e32 v24, v169, v118
	v_add_f16_e32 v118, v120, v119
	v_lshrrev_b32_e32 v132, 16, v117
	v_fma_f16 v113, v24, s5, v23
	v_fma_f16 v23, v24, s4, v23
	v_add_f16_e32 v24, v117, v120
	v_fma_f16 v117, v118, -0.5, v117
	v_sub_f16_e32 v118, v19, v20
	v_fma_f16 v146, v118, s4, v117
	v_fma_f16 v117, v118, s5, v117
	v_add_f16_e32 v118, v132, v19
	v_add_f16_e32 v19, v19, v20
	;; [unrolled: 1-line block ×3, first 2 shown]
	v_fma_f16 v19, v19, -0.5, v132
	v_sub_f16_e32 v20, v120, v119
	v_add_f16_e32 v120, v122, v123
	v_lshrrev_b32_e32 v149, 16, v126
	v_add_f16_e32 v24, v24, v119
	v_fma_f16 v119, v20, s5, v19
	v_fma_f16 v19, v20, s4, v19
	v_add_f16_e32 v20, v126, v122
	v_fma_f16 v120, v120, -0.5, v126
	v_sub_f16_e32 v126, v21, v22
	v_fma_f16 v132, v126, s4, v120
	v_fma_f16 v120, v126, s5, v120
	v_add_f16_e32 v126, v149, v21
	v_add_f16_e32 v21, v21, v22
	v_add_f16_e32 v20, v20, v123
	v_add_f16_e32 v126, v126, v22
	v_fma_f16 v21, v21, -0.5, v149
	v_sub_f16_e32 v22, v122, v123
	v_add_f16_e32 v123, v124, v128
	v_lshrrev_b32_e32 v152, 16, v127
	v_fma_f16 v122, v22, s5, v21
	v_fma_f16 v21, v22, s4, v21
	v_add_f16_e32 v22, v127, v124
	v_fma_f16 v123, v123, -0.5, v127
	v_sub_f16_e32 v127, v17, v18
	v_fma_f16 v148, v127, s4, v123
	v_fma_f16 v123, v127, s5, v123
	v_add_f16_e32 v127, v152, v17
	v_add_f16_e32 v17, v17, v18
	v_add_f16_e32 v22, v22, v128
	v_add_f16_e32 v127, v127, v18
	v_fma_f16 v17, v17, -0.5, v152
	v_sub_f16_e32 v18, v124, v128
	v_add_f16_e32 v128, v129, v130
	v_lshrrev_b32_e32 v155, 16, v134
	v_fma_f16 v124, v18, s5, v17
	v_fma_f16 v17, v18, s4, v17
	v_add_f16_e32 v18, v134, v129
	v_fma_f16 v128, v128, -0.5, v134
	v_sub_f16_e32 v134, v31, v32
	v_fma_f16 v149, v134, s4, v128
	v_fma_f16 v128, v134, s5, v128
	v_add_f16_e32 v134, v155, v31
	v_add_f16_e32 v31, v31, v32
	v_add_f16_e32 v18, v18, v130
	v_add_f16_e32 v134, v134, v32
	v_fma_f16 v31, v31, -0.5, v155
	v_sub_f16_e32 v32, v129, v130
	v_add_f16_e32 v130, v131, v136
	v_lshrrev_b32_e32 v158, 16, v135
	v_fma_f16 v129, v32, s5, v31
	v_fma_f16 v31, v32, s4, v31
	v_add_f16_e32 v32, v135, v131
	v_fma_f16 v130, v130, -0.5, v135
	v_sub_f16_e32 v135, v29, v30
	v_fma_f16 v150, v135, s4, v130
	v_fma_f16 v130, v135, s5, v130
	v_add_f16_e32 v135, v158, v29
	v_add_f16_e32 v29, v29, v30
	v_add_f16_e32 v32, v32, v136
	v_add_f16_e32 v135, v135, v30
	v_fma_f16 v29, v29, -0.5, v158
	v_sub_f16_e32 v30, v131, v136
	v_add_f16_e32 v136, v137, v138
	v_lshrrev_b32_e32 v161, 16, v140
	v_fma_f16 v131, v30, s5, v29
	v_fma_f16 v29, v30, s4, v29
	v_add_f16_e32 v30, v140, v137
	v_fma_f16 v136, v136, -0.5, v140
	v_sub_f16_e32 v140, v27, v28
	v_fma_f16 v151, v140, s4, v136
	v_fma_f16 v136, v140, s5, v136
	v_add_f16_e32 v140, v161, v27
	v_add_f16_e32 v27, v27, v28
	v_add_f16_e32 v30, v30, v138
	v_add_f16_e32 v140, v140, v28
	v_fma_f16 v27, v27, -0.5, v161
	v_sub_f16_e32 v28, v137, v138
	v_add_f16_e32 v138, v139, v142
	v_lshrrev_b32_e32 v164, 16, v141
	v_fma_f16 v137, v28, s5, v27
	v_fma_f16 v27, v28, s4, v27
	v_add_f16_e32 v28, v141, v139
	v_fma_f16 v138, v138, -0.5, v141
	v_sub_f16_e32 v141, v25, v26
	v_fma_f16 v152, v141, s4, v138
	v_fma_f16 v138, v141, s5, v138
	v_add_f16_e32 v141, v164, v25
	v_add_f16_e32 v25, v25, v26
	;; [unrolled: 1-line block ×3, first 2 shown]
	v_fma_f16 v25, v25, -0.5, v164
	v_sub_f16_e32 v26, v139, v142
	v_fma_f16 v139, v26, s5, v25
	v_fma_f16 v25, v26, s4, v25
	v_pack_b32_f16 v26, v143, v144
	v_pack_b32_f16 v113, v145, v113
	v_pack_b32_f16 v23, v116, v23
	v_pack_b32_f16 v19, v117, v19
	s_waitcnt lgkmcnt(0)
	; wave barrier
	ds_write2_b32 v121, v26, v113 offset1:8
	ds_write_b32 v121, v23 offset:64
	v_pack_b32_f16 v23, v24, v118
	v_pack_b32_f16 v24, v146, v119
	ds_write_b32 v133, v19 offset:64
	v_pack_b32_f16 v19, v20, v126
	v_pack_b32_f16 v20, v132, v122
	ds_write2_b32 v133, v23, v24 offset1:8
	ds_write2_b32 v147, v19, v20 offset1:8
	v_pack_b32_f16 v19, v120, v21
	v_pack_b32_f16 v17, v123, v17
	ds_write_b32 v147, v19 offset:64
	v_pack_b32_f16 v19, v22, v127
	v_pack_b32_f16 v20, v148, v124
	ds_write_b32 v165, v17 offset:64
	v_pack_b32_f16 v17, v18, v134
	v_pack_b32_f16 v18, v149, v129
	ds_write2_b32 v165, v19, v20 offset1:8
	ds_write2_b32 v176, v17, v18 offset1:8
	v_pack_b32_f16 v17, v128, v31
	ds_write_b32 v176, v17 offset:64
	v_pack_b32_f16 v17, v32, v135
	v_pack_b32_f16 v18, v150, v131
	ds_write2_b32 v181, v17, v18 offset1:8
	v_pack_b32_f16 v17, v130, v29
	ds_write_b32 v181, v17 offset:64
	v_pack_b32_f16 v17, v30, v140
	v_pack_b32_f16 v18, v151, v137
	v_add_f16_e32 v28, v28, v142
	ds_write2_b32 v185, v17, v18 offset1:8
	v_pack_b32_f16 v17, v136, v27
	ds_write_b32 v185, v17 offset:64
	v_pack_b32_f16 v17, v28, v141
	v_pack_b32_f16 v18, v152, v139
	ds_write2_b32 v188, v17, v18 offset1:8
	v_pack_b32_f16 v17, v138, v25
	ds_write_b32 v188, v17 offset:64
	s_waitcnt lgkmcnt(0)
	; wave barrier
	s_waitcnt lgkmcnt(0)
	ds_read2_b32 v[17:18], v87 offset1:63
	ds_read2_b32 v[19:20], v203 offset0:120 offset1:183
	ds_read2_b32 v[21:22], v86 offset0:112 offset1:175
	;; [unrolled: 1-line block ×11, first 2 shown]
	s_waitcnt lgkmcnt(10)
	v_lshrrev_b32_e32 v124, 16, v19
	v_mul_f16_sdwa v148, v33, v124 dst_sel:DWORD dst_unused:UNUSED_PAD src0_sel:WORD_1 src1_sel:DWORD
	s_waitcnt lgkmcnt(9)
	v_lshrrev_b32_e32 v126, 16, v21
	v_fma_f16 v148, v33, v19, v148
	v_mul_f16_sdwa v19, v33, v19 dst_sel:DWORD dst_unused:UNUSED_PAD src0_sel:WORD_1 src1_sel:DWORD
	v_fma_f16 v19, v33, v124, -v19
	v_mul_f16_sdwa v33, v34, v126 dst_sel:DWORD dst_unused:UNUSED_PAD src0_sel:WORD_1 src1_sel:DWORD
	v_lshrrev_b32_e32 v128, 16, v20
	v_fma_f16 v33, v34, v21, v33
	v_mul_f16_sdwa v21, v34, v21 dst_sel:DWORD dst_unused:UNUSED_PAD src0_sel:WORD_1 src1_sel:DWORD
	v_fma_f16 v21, v34, v126, -v21
	v_mul_f16_sdwa v34, v39, v128 dst_sel:DWORD dst_unused:UNUSED_PAD src0_sel:WORD_1 src1_sel:DWORD
	v_lshrrev_b32_e32 v129, 16, v22
	v_fma_f16 v34, v39, v20, v34
	v_mul_f16_sdwa v20, v39, v20 dst_sel:DWORD dst_unused:UNUSED_PAD src0_sel:WORD_1 src1_sel:DWORD
	v_fma_f16 v20, v39, v128, -v20
	v_mul_f16_sdwa v39, v40, v129 dst_sel:DWORD dst_unused:UNUSED_PAD src0_sel:WORD_1 src1_sel:DWORD
	s_waitcnt lgkmcnt(7)
	v_lshrrev_b32_e32 v131, 16, v25
	v_fma_f16 v39, v40, v22, v39
	v_mul_f16_sdwa v22, v40, v22 dst_sel:DWORD dst_unused:UNUSED_PAD src0_sel:WORD_1 src1_sel:DWORD
	v_fma_f16 v22, v40, v129, -v22
	v_mul_f16_sdwa v40, v37, v131 dst_sel:DWORD dst_unused:UNUSED_PAD src0_sel:WORD_1 src1_sel:DWORD
	s_waitcnt lgkmcnt(6)
	v_lshrrev_b32_e32 v132, 16, v27
	v_fma_f16 v40, v37, v25, v40
	v_mul_f16_sdwa v25, v37, v25 dst_sel:DWORD dst_unused:UNUSED_PAD src0_sel:WORD_1 src1_sel:DWORD
	v_fma_f16 v25, v37, v131, -v25
	v_mul_f16_sdwa v37, v38, v132 dst_sel:DWORD dst_unused:UNUSED_PAD src0_sel:WORD_1 src1_sel:DWORD
	v_lshrrev_b32_e32 v134, 16, v26
	v_fma_f16 v37, v38, v27, v37
	v_mul_f16_sdwa v27, v38, v27 dst_sel:DWORD dst_unused:UNUSED_PAD src0_sel:WORD_1 src1_sel:DWORD
	v_fma_f16 v27, v38, v132, -v27
	v_mul_f16_sdwa v38, v35, v134 dst_sel:DWORD dst_unused:UNUSED_PAD src0_sel:WORD_1 src1_sel:DWORD
	v_lshrrev_b32_e32 v135, 16, v28
	v_fma_f16 v38, v35, v26, v38
	v_mul_f16_sdwa v26, v35, v26 dst_sel:DWORD dst_unused:UNUSED_PAD src0_sel:WORD_1 src1_sel:DWORD
	v_fma_f16 v26, v35, v134, -v26
	v_mul_f16_sdwa v35, v36, v135 dst_sel:DWORD dst_unused:UNUSED_PAD src0_sel:WORD_1 src1_sel:DWORD
	s_waitcnt lgkmcnt(4)
	v_lshrrev_b32_e32 v137, 16, v31
	v_fma_f16 v35, v36, v28, v35
	v_mul_f16_sdwa v28, v36, v28 dst_sel:DWORD dst_unused:UNUSED_PAD src0_sel:WORD_1 src1_sel:DWORD
	v_fma_f16 v28, v36, v135, -v28
	;; [unrolled: 22-line block ×3, first 2 shown]
	v_mul_f16_sdwa v117, v43, v143 dst_sel:DWORD dst_unused:UNUSED_PAD src0_sel:WORD_1 src1_sel:DWORD
	s_waitcnt lgkmcnt(0)
	v_lshrrev_b32_e32 v144, 16, v122
	v_fma_f16 v117, v43, v120, v117
	v_mul_f16_sdwa v120, v43, v120 dst_sel:DWORD dst_unused:UNUSED_PAD src0_sel:WORD_1 src1_sel:DWORD
	v_fma_f16 v43, v43, v143, -v120
	v_mul_f16_sdwa v120, v44, v144 dst_sel:DWORD dst_unused:UNUSED_PAD src0_sel:WORD_1 src1_sel:DWORD
	v_lshrrev_b32_e32 v146, 16, v121
	v_fma_f16 v120, v44, v122, v120
	v_mul_f16_sdwa v122, v44, v122 dst_sel:DWORD dst_unused:UNUSED_PAD src0_sel:WORD_1 src1_sel:DWORD
	v_fma_f16 v44, v44, v144, -v122
	v_mul_f16_sdwa v122, v41, v146 dst_sel:DWORD dst_unused:UNUSED_PAD src0_sel:WORD_1 src1_sel:DWORD
	;; [unrolled: 5-line block ×3, first 2 shown]
	v_fma_f16 v121, v42, v123, v121
	v_mul_f16_sdwa v123, v42, v123 dst_sel:DWORD dst_unused:UNUSED_PAD src0_sel:WORD_1 src1_sel:DWORD
	v_add_f16_e32 v124, v148, v33
	v_lshrrev_b32_e32 v113, 16, v17
	v_fma_f16 v42, v42, v147, -v123
	v_add_f16_e32 v123, v17, v148
	v_fma_f16 v17, v124, -0.5, v17
	v_sub_f16_e32 v124, v19, v21
	v_fma_f16 v126, v124, s4, v17
	v_fma_f16 v17, v124, s5, v17
	v_add_f16_e32 v124, v113, v19
	v_add_f16_e32 v19, v19, v21
	;; [unrolled: 1-line block ×3, first 2 shown]
	v_fma_f16 v19, v19, -0.5, v113
	v_sub_f16_e32 v21, v148, v33
	v_add_f16_e32 v113, v34, v39
	v_lshrrev_b32_e32 v127, 16, v18
	v_add_f16_e32 v123, v123, v33
	v_fma_f16 v33, v21, s5, v19
	v_fma_f16 v19, v21, s4, v19
	v_add_f16_e32 v21, v18, v34
	v_fma_f16 v18, v113, -0.5, v18
	v_sub_f16_e32 v113, v20, v22
	v_fma_f16 v128, v113, s4, v18
	v_fma_f16 v18, v113, s5, v18
	v_add_f16_e32 v113, v127, v20
	v_add_f16_e32 v20, v20, v22
	;; [unrolled: 1-line block ×4, first 2 shown]
	v_fma_f16 v20, v20, -0.5, v127
	v_sub_f16_e32 v22, v34, v39
	v_add_f16_e32 v39, v40, v37
	v_lshrrev_b32_e32 v130, 16, v23
	v_fma_f16 v34, v22, s5, v20
	v_fma_f16 v20, v22, s4, v20
	v_add_f16_e32 v22, v23, v40
	v_fma_f16 v23, v39, -0.5, v23
	v_sub_f16_e32 v39, v25, v27
	v_fma_f16 v127, v39, s4, v23
	v_fma_f16 v23, v39, s5, v23
	v_add_f16_e32 v39, v130, v25
	v_add_f16_e32 v25, v25, v27
	v_add_f16_e32 v39, v39, v27
	v_fma_f16 v25, v25, -0.5, v130
	v_sub_f16_e32 v27, v40, v37
	v_add_f16_e32 v40, v38, v35
	v_lshrrev_b32_e32 v133, 16, v24
	v_add_f16_e32 v22, v22, v37
	v_fma_f16 v37, v27, s5, v25
	v_fma_f16 v25, v27, s4, v25
	v_add_f16_e32 v27, v24, v38
	v_fma_f16 v24, v40, -0.5, v24
	v_sub_f16_e32 v40, v26, v28
	v_fma_f16 v129, v40, s4, v24
	v_fma_f16 v24, v40, s5, v24
	v_add_f16_e32 v40, v133, v26
	v_add_f16_e32 v26, v26, v28
	v_add_f16_e32 v40, v40, v28
	v_fma_f16 v26, v26, -0.5, v133
	v_sub_f16_e32 v28, v38, v35
	v_add_f16_e32 v38, v36, v47
	v_lshrrev_b32_e32 v136, 16, v29
	v_add_f16_e32 v27, v27, v35
	v_fma_f16 v35, v28, s5, v26
	v_fma_f16 v26, v28, s4, v26
	v_add_f16_e32 v28, v29, v36
	v_fma_f16 v29, v38, -0.5, v29
	v_sub_f16_e32 v38, v31, v48
	v_fma_f16 v130, v38, s4, v29
	v_fma_f16 v29, v38, s5, v29
	v_add_f16_e32 v38, v136, v31
	v_add_f16_e32 v31, v31, v48
	v_add_f16_e32 v38, v38, v48
	v_fma_f16 v31, v31, -0.5, v136
	v_sub_f16_e32 v36, v36, v47
	v_add_f16_e32 v48, v116, v45
	v_lshrrev_b32_e32 v139, 16, v30
	v_add_f16_e32 v28, v28, v47
	v_fma_f16 v47, v36, s5, v31
	v_fma_f16 v31, v36, s4, v31
	v_add_f16_e32 v36, v30, v116
	v_fma_f16 v30, v48, -0.5, v30
	v_sub_f16_e32 v48, v32, v46
	v_fma_f16 v131, v48, s4, v30
	v_fma_f16 v30, v48, s5, v30
	v_add_f16_e32 v48, v139, v32
	v_add_f16_e32 v32, v32, v46
	v_add_f16_e32 v36, v36, v45
	v_fma_f16 v32, v32, -0.5, v139
	v_sub_f16_e32 v45, v116, v45
	v_add_f16_e32 v116, v117, v120
	v_lshrrev_b32_e32 v142, 16, v118
	v_add_f16_e32 v48, v48, v46
	v_fma_f16 v46, v45, s5, v32
	v_fma_f16 v32, v45, s4, v32
	v_add_f16_e32 v45, v118, v117
	v_fma_f16 v116, v116, -0.5, v118
	v_sub_f16_e32 v118, v43, v44
	v_fma_f16 v132, v118, s4, v116
	v_fma_f16 v116, v118, s5, v116
	v_add_f16_e32 v118, v142, v43
	v_add_f16_e32 v43, v43, v44
	;; [unrolled: 1-line block ×4, first 2 shown]
	v_fma_f16 v43, v43, -0.5, v142
	v_sub_f16_e32 v44, v117, v120
	v_add_f16_e32 v120, v122, v121
	v_lshrrev_b32_e32 v145, 16, v119
	v_fma_f16 v117, v44, s5, v43
	v_fma_f16 v43, v44, s4, v43
	v_add_f16_e32 v44, v119, v122
	v_fma_f16 v119, v120, -0.5, v119
	v_sub_f16_e32 v120, v41, v42
	v_fma_f16 v133, v120, s4, v119
	v_fma_f16 v119, v120, s5, v119
	v_add_f16_e32 v120, v145, v41
	v_add_f16_e32 v41, v41, v42
	;; [unrolled: 1-line block ×3, first 2 shown]
	v_fma_f16 v41, v41, -0.5, v145
	v_sub_f16_e32 v42, v122, v121
	v_pack_b32_f16 v17, v17, v19
	v_add_f16_e32 v44, v44, v121
	v_fma_f16 v121, v42, s5, v41
	v_fma_f16 v41, v42, s4, v41
	s_waitcnt lgkmcnt(0)
	; wave barrier
	v_pack_b32_f16 v42, v123, v124
	v_pack_b32_f16 v33, v126, v33
	ds_write_b32 v125, v17 offset:192
	v_pack_b32_f16 v17, v21, v113
	v_pack_b32_f16 v19, v128, v34
	ds_write2_b32 v125, v42, v33 offset1:24
	ds_write2_b32 v166, v17, v19 offset1:24
	v_pack_b32_f16 v17, v18, v20
	ds_write_b32 v166, v17 offset:192
	v_pack_b32_f16 v17, v22, v39
	v_pack_b32_f16 v18, v127, v37
	ds_write2_b32 v173, v17, v18 offset1:24
	v_pack_b32_f16 v17, v23, v25
	ds_write_b32 v173, v17 offset:192
	v_pack_b32_f16 v17, v27, v40
	v_pack_b32_f16 v18, v129, v35
	;; [unrolled: 5-line block ×6, first 2 shown]
	ds_write2_b32 v190, v17, v18 offset1:24
	v_pack_b32_f16 v17, v119, v41
	ds_write_b32 v190, v17 offset:192
	s_waitcnt lgkmcnt(0)
	; wave barrier
	s_waitcnt lgkmcnt(0)
	ds_read2_b32 v[17:18], v87 offset1:63
	ds_read2_b32 v[19:20], v203 offset0:120 offset1:183
	ds_read2_b32 v[21:22], v86 offset0:112 offset1:175
	;; [unrolled: 1-line block ×11, first 2 shown]
	s_waitcnt lgkmcnt(10)
	v_lshrrev_b32_e32 v42, 16, v19
	v_mul_f16_sdwa v130, v49, v42 dst_sel:DWORD dst_unused:UNUSED_PAD src0_sel:WORD_1 src1_sel:DWORD
	s_waitcnt lgkmcnt(9)
	v_lshrrev_b32_e32 v43, 16, v21
	v_fma_f16 v130, v49, v19, v130
	v_mul_f16_sdwa v19, v49, v19 dst_sel:DWORD dst_unused:UNUSED_PAD src0_sel:WORD_1 src1_sel:DWORD
	v_fma_f16 v19, v49, v42, -v19
	v_mul_f16_sdwa v42, v50, v43 dst_sel:DWORD dst_unused:UNUSED_PAD src0_sel:WORD_1 src1_sel:DWORD
	v_lshrrev_b32_e32 v45, 16, v20
	v_fma_f16 v42, v50, v21, v42
	v_mul_f16_sdwa v21, v50, v21 dst_sel:DWORD dst_unused:UNUSED_PAD src0_sel:WORD_1 src1_sel:DWORD
	v_fma_f16 v21, v50, v43, -v21
	v_mul_f16_sdwa v43, v51, v45 dst_sel:DWORD dst_unused:UNUSED_PAD src0_sel:WORD_1 src1_sel:DWORD
	;; [unrolled: 5-line block ×3, first 2 shown]
	s_waitcnt lgkmcnt(7)
	v_lshrrev_b32_e32 v48, 16, v25
	v_fma_f16 v45, v52, v22, v45
	v_mul_f16_sdwa v22, v52, v22 dst_sel:DWORD dst_unused:UNUSED_PAD src0_sel:WORD_1 src1_sel:DWORD
	v_fma_f16 v22, v52, v46, -v22
	v_mul_f16_sdwa v46, v57, v48 dst_sel:DWORD dst_unused:UNUSED_PAD src0_sel:WORD_1 src1_sel:DWORD
	s_waitcnt lgkmcnt(4)
	v_lshrrev_b32_e32 v122, 16, v32
	v_fma_f16 v46, v57, v25, v46
	v_mul_f16_sdwa v25, v57, v25 dst_sel:DWORD dst_unused:UNUSED_PAD src0_sel:WORD_1 src1_sel:DWORD
	v_fma_f16 v25, v57, v48, -v25
	v_mul_f16_sdwa v57, v59, v122 dst_sel:DWORD dst_unused:UNUSED_PAD src0_sel:WORD_1 src1_sel:DWORD
	s_waitcnt lgkmcnt(1)
	v_lshrrev_b32_e32 v125, 16, v37
	v_fma_f16 v57, v59, v32, v57
	v_mul_f16_sdwa v32, v59, v32 dst_sel:DWORD dst_unused:UNUSED_PAD src0_sel:WORD_1 src1_sel:DWORD
	v_fma_f16 v32, v59, v122, -v32
	v_mul_f16_sdwa v59, v55, v125 dst_sel:DWORD dst_unused:UNUSED_PAD src0_sel:WORD_1 src1_sel:DWORD
	s_waitcnt lgkmcnt(0)
	v_lshrrev_b32_e32 v126, 16, v39
	v_fma_f16 v59, v55, v37, v59
	v_mul_f16_sdwa v37, v55, v37 dst_sel:DWORD dst_unused:UNUSED_PAD src0_sel:WORD_1 src1_sel:DWORD
	v_lshrrev_b32_e32 v113, 16, v27
	v_fma_f16 v37, v55, v125, -v37
	v_mul_f16_sdwa v55, v56, v126 dst_sel:DWORD dst_unused:UNUSED_PAD src0_sel:WORD_1 src1_sel:DWORD
	v_lshrrev_b32_e32 v128, 16, v38
	v_mul_f16_sdwa v48, v58, v113 dst_sel:DWORD dst_unused:UNUSED_PAD src0_sel:WORD_1 src1_sel:DWORD
	v_fma_f16 v55, v56, v39, v55
	v_mul_f16_sdwa v39, v56, v39 dst_sel:DWORD dst_unused:UNUSED_PAD src0_sel:WORD_1 src1_sel:DWORD
	v_lshrrev_b32_e32 v123, 16, v34
	v_fma_f16 v48, v58, v27, v48
	v_mul_f16_sdwa v27, v58, v27 dst_sel:DWORD dst_unused:UNUSED_PAD src0_sel:WORD_1 src1_sel:DWORD
	v_fma_f16 v39, v56, v126, -v39
	v_mul_f16_sdwa v56, v53, v128 dst_sel:DWORD dst_unused:UNUSED_PAD src0_sel:WORD_1 src1_sel:DWORD
	v_lshrrev_b32_e32 v129, 16, v40
	v_fma_f16 v27, v58, v113, -v27
	v_mul_f16_sdwa v58, v60, v123 dst_sel:DWORD dst_unused:UNUSED_PAD src0_sel:WORD_1 src1_sel:DWORD
	v_fma_f16 v56, v53, v38, v56
	v_mul_f16_sdwa v38, v53, v38 dst_sel:DWORD dst_unused:UNUSED_PAD src0_sel:WORD_1 src1_sel:DWORD
	v_lshrrev_b32_e32 v119, 16, v31
	v_fma_f16 v58, v60, v34, v58
	v_mul_f16_sdwa v34, v60, v34 dst_sel:DWORD dst_unused:UNUSED_PAD src0_sel:WORD_1 src1_sel:DWORD
	v_fma_f16 v38, v53, v128, -v38
	v_mul_f16_sdwa v53, v54, v129 dst_sel:DWORD dst_unused:UNUSED_PAD src0_sel:WORD_1 src1_sel:DWORD
	v_lshrrev_b32_e32 v120, 16, v33
	v_mul_f16_sdwa v51, v61, v119 dst_sel:DWORD dst_unused:UNUSED_PAD src0_sel:WORD_1 src1_sel:DWORD
	v_fma_f16 v34, v60, v123, -v34
	v_fma_f16 v53, v54, v40, v53
	v_mul_f16_sdwa v40, v54, v40 dst_sel:DWORD dst_unused:UNUSED_PAD src0_sel:WORD_1 src1_sel:DWORD
	v_add_f16_e32 v60, v130, v42
	v_lshrrev_b32_e32 v41, 16, v17
	v_fma_f16 v51, v61, v31, v51
	v_mul_f16_sdwa v31, v61, v31 dst_sel:DWORD dst_unused:UNUSED_PAD src0_sel:WORD_1 src1_sel:DWORD
	v_mul_f16_sdwa v52, v62, v120 dst_sel:DWORD dst_unused:UNUSED_PAD src0_sel:WORD_1 src1_sel:DWORD
	v_fma_f16 v40, v54, v129, -v40
	v_add_f16_e32 v54, v17, v130
	v_fma_f16 v17, v60, -0.5, v17
	v_sub_f16_e32 v60, v19, v21
	v_fma_f16 v31, v61, v119, -v31
	v_fma_f16 v52, v62, v33, v52
	v_mul_f16_sdwa v33, v62, v33 dst_sel:DWORD dst_unused:UNUSED_PAD src0_sel:WORD_1 src1_sel:DWORD
	v_fma_f16 v61, v60, s4, v17
	v_fma_f16 v60, v60, s5, v17
	v_add_f16_e32 v17, v41, v19
	v_fma_f16 v33, v62, v120, -v33
	v_add_f16_e32 v62, v17, v21
	v_add_f16_e32 v17, v19, v21
	v_fma_f16 v17, v17, -0.5, v41
	v_sub_f16_e32 v19, v130, v42
	v_lshrrev_b32_e32 v73, 16, v26
	v_lshrrev_b32_e32 v117, 16, v28
	v_fma_f16 v21, v19, s5, v17
	v_fma_f16 v19, v19, s4, v17
	v_add_f16_e32 v17, v18, v43
	v_mul_f16_sdwa v49, v63, v73 dst_sel:DWORD dst_unused:UNUSED_PAD src0_sel:WORD_1 src1_sel:DWORD
	v_mul_f16_sdwa v50, v64, v117 dst_sel:DWORD dst_unused:UNUSED_PAD src0_sel:WORD_1 src1_sel:DWORD
	v_add_f16_e32 v54, v54, v42
	v_add_f16_e32 v42, v17, v45
	;; [unrolled: 1-line block ×3, first 2 shown]
	v_lshrrev_b32_e32 v44, 16, v18
	v_fma_f16 v49, v63, v26, v49
	v_mul_f16_sdwa v26, v63, v26 dst_sel:DWORD dst_unused:UNUSED_PAD src0_sel:WORD_1 src1_sel:DWORD
	v_fma_f16 v50, v64, v28, v50
	v_mul_f16_sdwa v28, v64, v28 dst_sel:DWORD dst_unused:UNUSED_PAD src0_sel:WORD_1 src1_sel:DWORD
	v_fma_f16 v17, v17, -0.5, v18
	v_sub_f16_e32 v18, v20, v22
	v_fma_f16 v26, v63, v73, -v26
	v_fma_f16 v28, v64, v117, -v28
	v_fma_f16 v63, v18, s4, v17
	v_fma_f16 v64, v18, s5, v17
	v_add_f16_e32 v17, v44, v20
	v_add_f16_e32 v113, v17, v22
	v_add_f16_e32 v17, v20, v22
	v_fma_f16 v17, v17, -0.5, v44
	v_sub_f16_e32 v18, v43, v45
	v_fma_f16 v20, v18, s5, v17
	v_fma_f16 v22, v18, s4, v17
	v_add_f16_e32 v17, v23, v46
	v_add_f16_e32 v43, v17, v48
	v_add_f16_e32 v17, v46, v48
	v_lshrrev_b32_e32 v47, 16, v23
	v_fma_f16 v17, v17, -0.5, v23
	v_sub_f16_e32 v18, v25, v27
	v_fma_f16 v23, v18, s4, v17
	v_fma_f16 v44, v18, s5, v17
	v_add_f16_e32 v17, v47, v25
	v_add_f16_e32 v45, v17, v27
	v_add_f16_e32 v17, v25, v27
	v_fma_f16 v17, v17, -0.5, v47
	v_sub_f16_e32 v18, v46, v48
	v_fma_f16 v25, v18, s5, v17
	v_fma_f16 v27, v18, s4, v17
	v_add_f16_e32 v17, v24, v49
	v_add_f16_e32 v46, v17, v50
	v_add_f16_e32 v17, v49, v50
	v_lshrrev_b32_e32 v116, 16, v24
	v_fma_f16 v17, v17, -0.5, v24
	v_sub_f16_e32 v18, v26, v28
	;; [unrolled: 15-line block ×5, first 2 shown]
	v_fma_f16 v35, v18, s4, v17
	v_fma_f16 v58, v18, s5, v17
	v_add_f16_e32 v17, v124, v37
	v_add_f16_e32 v118, v17, v39
	;; [unrolled: 1-line block ×3, first 2 shown]
	v_fma_f16 v17, v17, -0.5, v124
	v_sub_f16_e32 v18, v59, v55
	v_fma_f16 v37, v18, s5, v17
	v_fma_f16 v55, v18, s4, v17
	v_add_f16_e32 v18, v56, v53
	v_lshrrev_b32_e32 v127, 16, v36
	v_add_f16_e32 v17, v36, v56
	v_fma_f16 v36, v18, -0.5, v36
	v_sub_f16_e32 v39, v38, v40
	v_fma_f16 v18, v39, s4, v36
	v_fma_f16 v73, v39, s5, v36
	v_add_f16_e32 v36, v127, v38
	v_add_f16_e32 v39, v36, v40
	;; [unrolled: 1-line block ×3, first 2 shown]
	v_fma_f16 v36, v36, -0.5, v127
	v_sub_f16_e32 v38, v56, v53
	v_pack_b32_f16 v19, v60, v19
	v_fma_f16 v41, v38, s5, v36
	v_fma_f16 v40, v38, s4, v36
	s_waitcnt lgkmcnt(0)
	; wave barrier
	v_pack_b32_f16 v36, v54, v62
	v_pack_b32_f16 v21, v61, v21
	ds_write_b32 v87, v19 offset:576
	v_pack_b32_f16 v19, v42, v113
	v_pack_b32_f16 v20, v63, v20
	ds_write2_b32 v87, v36, v21 offset1:72
	ds_write2_b32 v191, v19, v20 offset1:72
	v_pack_b32_f16 v19, v64, v22
	ds_write_b32 v191, v19 offset:576
	v_pack_b32_f16 v19, v43, v45
	v_pack_b32_f16 v20, v23, v25
	ds_write2_b32 v192, v19, v20 offset1:72
	v_pack_b32_f16 v19, v44, v27
	ds_write_b32 v192, v19 offset:576
	v_pack_b32_f16 v19, v46, v48
	v_pack_b32_f16 v20, v24, v26
	;; [unrolled: 5-line block ×5, first 2 shown]
	v_add_f16_e32 v17, v17, v53
	ds_write2_b32 v196, v19, v20 offset1:72
	v_pack_b32_f16 v19, v58, v55
	ds_write_b32 v196, v19 offset:576
	v_pack_b32_f16 v19, v17, v39
	v_pack_b32_f16 v20, v18, v41
	v_add_u32_e32 v21, 0x1400, v197
	ds_write2_b32 v21, v19, v20 offset0:16 offset1:88
	v_pack_b32_f16 v19, v73, v40
	ds_write_b32 v197, v19 offset:5760
	s_waitcnt lgkmcnt(0)
	; wave barrier
	s_waitcnt lgkmcnt(0)
	ds_read2_b32 v[21:22], v87 offset1:63
	ds_read2_b32 v[19:20], v87 offset0:126 offset1:216
	ds_read2_b32 v[37:38], v82 offset0:176 offset1:239
	;; [unrolled: 1-line block ×9, first 2 shown]
	ds_read_b32 v42, v87 offset:5688
	s_and_saveexec_b64 s[4:5], s[0:1]
	s_cbranch_execz .LBB0_7
; %bb.6:
	v_add_u32_e32 v17, 0x280, v87
	v_add_u32_e32 v39, 0x980, v87
	ds_read2_b32 v[17:18], v17 offset0:29 offset1:245
	ds_read2_b32 v[73:74], v39 offset0:13 offset1:229
	;; [unrolled: 1-line block ×3, first 2 shown]
	ds_read_b32 v80, v87 offset:5940
	s_waitcnt lgkmcnt(2)
	v_lshrrev_b32_e32 v40, 16, v73
	v_lshrrev_b32_e32 v39, 16, v17
	;; [unrolled: 1-line block ×4, first 2 shown]
	s_waitcnt lgkmcnt(1)
	v_lshrrev_b32_e32 v79, 16, v75
	v_lshrrev_b32_e32 v77, 16, v76
	s_waitcnt lgkmcnt(0)
	v_lshrrev_b32_e32 v81, 16, v80
.LBB0_7:
	s_or_b64 exec, exec, s[4:5]
	s_waitcnt lgkmcnt(9)
	v_lshrrev_b32_e32 v43, 16, v20
	v_mul_f16_sdwa v61, v4, v43 dst_sel:DWORD dst_unused:UNUSED_PAD src0_sel:WORD_1 src1_sel:DWORD
	s_waitcnt lgkmcnt(8)
	v_lshrrev_b32_e32 v44, 16, v37
	v_fma_f16 v61, v4, v20, v61
	v_mul_f16_sdwa v20, v4, v20 dst_sel:DWORD dst_unused:UNUSED_PAD src0_sel:WORD_1 src1_sel:DWORD
	v_fma_f16 v4, v4, v43, -v20
	v_mul_f16_sdwa v20, v5, v44 dst_sel:DWORD dst_unused:UNUSED_PAD src0_sel:WORD_1 src1_sel:DWORD
	s_waitcnt lgkmcnt(3)
	v_lshrrev_b32_e32 v49, 16, v31
	v_fma_f16 v20, v5, v37, v20
	v_mul_f16_sdwa v37, v5, v37 dst_sel:DWORD dst_unused:UNUSED_PAD src0_sel:WORD_1 src1_sel:DWORD
	v_lshrrev_b32_e32 v45, 16, v26
	v_fma_f16 v5, v5, v44, -v37
	v_mul_f16_sdwa v44, v8, v49 dst_sel:DWORD dst_unused:UNUSED_PAD src0_sel:WORD_1 src1_sel:DWORD
	v_lshrrev_b32_e32 v50, 16, v38
	v_mul_f16_sdwa v37, v6, v45 dst_sel:DWORD dst_unused:UNUSED_PAD src0_sel:WORD_1 src1_sel:DWORD
	v_fma_f16 v44, v8, v31, v44
	v_mul_f16_sdwa v31, v8, v31 dst_sel:DWORD dst_unused:UNUSED_PAD src0_sel:WORD_1 src1_sel:DWORD
	v_lshrrev_b32_e32 v46, 16, v35
	v_fma_f16 v37, v6, v26, v37
	v_mul_f16_sdwa v26, v6, v26 dst_sel:DWORD dst_unused:UNUSED_PAD src0_sel:WORD_1 src1_sel:DWORD
	v_fma_f16 v8, v8, v49, -v31
	v_mul_f16_sdwa v31, v9, v50 dst_sel:DWORD dst_unused:UNUSED_PAD src0_sel:WORD_1 src1_sel:DWORD
	s_waitcnt lgkmcnt(2)
	v_lshrrev_b32_e32 v51, 16, v29
	v_fma_f16 v6, v6, v45, -v26
	v_mul_f16_sdwa v26, v7, v46 dst_sel:DWORD dst_unused:UNUSED_PAD src0_sel:WORD_1 src1_sel:DWORD
	v_fma_f16 v31, v9, v38, v31
	v_mul_f16_sdwa v38, v9, v38 dst_sel:DWORD dst_unused:UNUSED_PAD src0_sel:WORD_1 src1_sel:DWORD
	v_lshrrev_b32_e32 v47, 16, v24
	v_lshrrev_b32_e32 v48, 16, v33
	;; [unrolled: 1-line block ×3, first 2 shown]
	v_fma_f16 v26, v7, v35, v26
	v_mul_f16_sdwa v35, v7, v35 dst_sel:DWORD dst_unused:UNUSED_PAD src0_sel:WORD_1 src1_sel:DWORD
	v_fma_f16 v9, v9, v50, -v38
	v_mul_f16_sdwa v38, v10, v51 dst_sel:DWORD dst_unused:UNUSED_PAD src0_sel:WORD_1 src1_sel:DWORD
	v_lshrrev_b32_e32 v52, 16, v36
	v_fma_f16 v7, v7, v46, -v35
	v_mul_f16_sdwa v35, v65, v47 dst_sel:DWORD dst_unused:UNUSED_PAD src0_sel:WORD_1 src1_sel:DWORD
	v_mul_f16_sdwa v43, v66, v48 dst_sel:DWORD dst_unused:UNUSED_PAD src0_sel:WORD_1 src1_sel:DWORD
	v_fma_f16 v38, v10, v29, v38
	v_mul_f16_sdwa v29, v10, v29 dst_sel:DWORD dst_unused:UNUSED_PAD src0_sel:WORD_1 src1_sel:DWORD
	v_mul_f16_sdwa v46, v12, v55 dst_sel:DWORD dst_unused:UNUSED_PAD src0_sel:WORD_1 src1_sel:DWORD
	v_lshrrev_b32_e32 v56, 16, v25
	v_fma_f16 v35, v65, v24, v35
	v_mul_f16_sdwa v24, v65, v24 dst_sel:DWORD dst_unused:UNUSED_PAD src0_sel:WORD_1 src1_sel:DWORD
	v_fma_f16 v43, v66, v33, v43
	v_mul_f16_sdwa v33, v66, v33 dst_sel:DWORD dst_unused:UNUSED_PAD src0_sel:WORD_1 src1_sel:DWORD
	v_fma_f16 v10, v10, v51, -v29
	v_mul_f16_sdwa v29, v11, v52 dst_sel:DWORD dst_unused:UNUSED_PAD src0_sel:WORD_1 src1_sel:DWORD
	v_fma_f16 v46, v12, v32, v46
	v_mul_f16_sdwa v32, v12, v32 dst_sel:DWORD dst_unused:UNUSED_PAD src0_sel:WORD_1 src1_sel:DWORD
	s_waitcnt lgkmcnt(1)
	v_lshrrev_b32_e32 v53, 16, v27
	v_lshrrev_b32_e32 v54, 16, v34
	v_fma_f16 v24, v65, v47, -v24
	v_fma_f16 v33, v66, v48, -v33
	v_fma_f16 v29, v11, v36, v29
	v_mul_f16_sdwa v36, v11, v36 dst_sel:DWORD dst_unused:UNUSED_PAD src0_sel:WORD_1 src1_sel:DWORD
	v_fma_f16 v12, v12, v55, -v32
	v_mul_f16_sdwa v32, v13, v56 dst_sel:DWORD dst_unused:UNUSED_PAD src0_sel:WORD_1 src1_sel:DWORD
	v_lshrrev_b32_e32 v57, 16, v30
	v_fma_f16 v11, v11, v52, -v36
	v_mul_f16_sdwa v36, v69, v53 dst_sel:DWORD dst_unused:UNUSED_PAD src0_sel:WORD_1 src1_sel:DWORD
	v_mul_f16_sdwa v45, v70, v54 dst_sel:DWORD dst_unused:UNUSED_PAD src0_sel:WORD_1 src1_sel:DWORD
	v_fma_f16 v32, v13, v25, v32
	v_mul_f16_sdwa v25, v13, v25 dst_sel:DWORD dst_unused:UNUSED_PAD src0_sel:WORD_1 src1_sel:DWORD
	v_add_f16_e32 v48, v61, v43
	v_add_f16_e32 v49, v4, v33
	v_sub_f16_e32 v4, v4, v33
	v_add_f16_e32 v33, v20, v35
	v_add_f16_e32 v50, v5, v24
	v_fma_f16 v36, v69, v27, v36
	v_mul_f16_sdwa v27, v69, v27 dst_sel:DWORD dst_unused:UNUSED_PAD src0_sel:WORD_1 src1_sel:DWORD
	v_fma_f16 v45, v70, v34, v45
	v_mul_f16_sdwa v34, v70, v34 dst_sel:DWORD dst_unused:UNUSED_PAD src0_sel:WORD_1 src1_sel:DWORD
	v_fma_f16 v13, v13, v56, -v25
	v_mul_f16_sdwa v25, v14, v57 dst_sel:DWORD dst_unused:UNUSED_PAD src0_sel:WORD_1 src1_sel:DWORD
	v_sub_f16_e32 v43, v61, v43
	v_sub_f16_e32 v20, v20, v35
	;; [unrolled: 1-line block ×3, first 2 shown]
	v_add_f16_e32 v24, v37, v26
	v_add_f16_e32 v35, v6, v7
	v_sub_f16_e32 v26, v26, v37
	v_sub_f16_e32 v6, v7, v6
	v_add_f16_e32 v7, v33, v48
	v_add_f16_e32 v37, v50, v49
	v_fma_f16 v27, v69, v53, -v27
	v_fma_f16 v34, v70, v54, -v34
	v_fma_f16 v25, v14, v30, v25
	v_mul_f16_sdwa v30, v14, v30 dst_sel:DWORD dst_unused:UNUSED_PAD src0_sel:WORD_1 src1_sel:DWORD
	v_sub_f16_e32 v51, v33, v48
	v_sub_f16_e32 v52, v50, v49
	;; [unrolled: 1-line block ×6, first 2 shown]
	v_add_f16_e32 v53, v26, v20
	v_add_f16_e32 v54, v6, v5
	v_sub_f16_e32 v55, v26, v20
	v_sub_f16_e32 v56, v6, v5
	;; [unrolled: 1-line block ×4, first 2 shown]
	v_add_f16_e32 v7, v24, v7
	v_add_f16_e32 v24, v35, v37
	v_fma_f16 v14, v14, v57, -v30
	v_sub_f16_e32 v26, v43, v26
	v_sub_f16_e32 v6, v4, v6
	v_add_f16_e32 v35, v53, v43
	v_add_f16_e32 v4, v54, v4
	;; [unrolled: 1-line block ×3, first 2 shown]
	v_add_f16_sdwa v21, v21, v24 dst_sel:DWORD dst_unused:UNUSED_PAD src0_sel:WORD_1 src1_sel:DWORD
	v_mul_f16_e32 v43, 0x3a52, v48
	v_mul_f16_e32 v48, 0x3a52, v49
	s_movk_i32 s15, 0x2b26
	v_mul_f16_e32 v49, 0x2b26, v33
	v_mul_f16_e32 v53, 0x2b26, v50
	;; [unrolled: 1-line block ×4, first 2 shown]
	s_mov_b32 s6, 0xbb00
	v_mul_f16_e32 v56, 0xbb00, v20
	v_mul_f16_e32 v57, 0xbb00, v5
	s_mov_b32 s16, 0xbcab
	s_mov_b32 s12, 0xb9e0
	s_movk_i32 s13, 0x3574
	v_fma_f16 v7, v7, s16, v37
	v_fma_f16 v24, v24, s16, v21
	;; [unrolled: 1-line block ×4, first 2 shown]
	v_fma_f16 v49, v51, s7, -v49
	v_fma_f16 v53, v52, s7, -v53
	;; [unrolled: 1-line block ×4, first 2 shown]
	v_fma_f16 v51, v26, s17, v54
	v_fma_f16 v52, v6, s17, v55
	v_fma_f16 v5, v5, s6, -v55
	v_fma_f16 v26, v26, s13, -v56
	;; [unrolled: 1-line block ×3, first 2 shown]
	s_mov_b32 s14, 0xb70e
	v_fma_f16 v20, v20, s6, -v54
	v_add_f16_e32 v33, v33, v7
	v_add_f16_e32 v50, v50, v24
	;; [unrolled: 1-line block ×6, first 2 shown]
	v_fma_f16 v43, v35, s14, v51
	v_fma_f16 v48, v4, s14, v52
	;; [unrolled: 1-line block ×5, first 2 shown]
	v_lshrrev_b32_e32 v58, 16, v23
	v_fma_f16 v20, v35, s14, v20
	v_add_f16_e32 v6, v48, v33
	v_sub_f16_e32 v35, v50, v43
	v_add_f16_e32 v51, v4, v7
	v_sub_f16_e32 v52, v24, v26
	v_sub_f16_e32 v4, v7, v4
	v_add_f16_e32 v7, v26, v24
	v_sub_f16_e32 v24, v33, v48
	v_add_f16_e32 v26, v43, v50
	v_add_f16_e32 v33, v44, v45
	;; [unrolled: 1-line block ×3, first 2 shown]
	v_sub_f16_e32 v44, v44, v45
	v_sub_f16_e32 v8, v8, v34
	v_add_f16_e32 v34, v31, v36
	v_add_f16_e32 v45, v9, v27
	v_mul_f16_sdwa v30, v15, v58 dst_sel:DWORD dst_unused:UNUSED_PAD src0_sel:WORD_1 src1_sel:DWORD
	v_sub_f16_e32 v31, v31, v36
	v_sub_f16_e32 v9, v9, v27
	v_add_f16_e32 v27, v38, v29
	v_add_f16_e32 v36, v10, v11
	v_sub_f16_e32 v29, v29, v38
	v_sub_f16_e32 v10, v11, v10
	v_add_f16_e32 v11, v34, v33
	v_add_f16_e32 v38, v45, v43
	v_lshrrev_b32_e32 v59, 16, v28
	s_waitcnt lgkmcnt(0)
	v_lshrrev_b32_e32 v60, 16, v42
	v_fma_f16 v30, v15, v23, v30
	v_mul_f16_sdwa v23, v15, v23 dst_sel:DWORD dst_unused:UNUSED_PAD src0_sel:WORD_1 src1_sel:DWORD
	v_sub_f16_e32 v54, v49, v5
	v_add_f16_e32 v55, v20, v53
	v_add_f16_e32 v5, v5, v49
	v_sub_f16_e32 v20, v53, v20
	v_sub_f16_e32 v48, v34, v33
	;; [unrolled: 1-line block ×7, first 2 shown]
	v_add_f16_e32 v50, v29, v31
	v_add_f16_e32 v53, v10, v9
	v_sub_f16_e32 v56, v29, v31
	v_sub_f16_e32 v57, v10, v9
	;; [unrolled: 1-line block ×4, first 2 shown]
	v_add_f16_e32 v11, v27, v11
	v_add_f16_e32 v27, v36, v38
	v_fma_f16 v15, v15, v58, -v23
	v_mul_f16_sdwa v23, v71, v59 dst_sel:DWORD dst_unused:UNUSED_PAD src0_sel:WORD_1 src1_sel:DWORD
	v_mul_f16_sdwa v47, v72, v60 dst_sel:DWORD dst_unused:UNUSED_PAD src0_sel:WORD_1 src1_sel:DWORD
	v_sub_f16_e32 v29, v44, v29
	v_sub_f16_e32 v10, v8, v10
	v_add_f16_e32 v36, v50, v44
	v_add_f16_e32 v8, v53, v8
	;; [unrolled: 1-line block ×3, first 2 shown]
	v_add_f16_sdwa v22, v22, v27 dst_sel:DWORD dst_unused:UNUSED_PAD src0_sel:WORD_1 src1_sel:DWORD
	v_mul_f16_e32 v33, 0x3a52, v33
	v_mul_f16_e32 v43, 0x3a52, v43
	;; [unrolled: 1-line block ×8, first 2 shown]
	v_fma_f16 v23, v71, v28, v23
	v_mul_f16_sdwa v28, v71, v28 dst_sel:DWORD dst_unused:UNUSED_PAD src0_sel:WORD_1 src1_sel:DWORD
	v_fma_f16 v47, v72, v42, v47
	v_mul_f16_sdwa v42, v72, v42 dst_sel:DWORD dst_unused:UNUSED_PAD src0_sel:WORD_1 src1_sel:DWORD
	v_fma_f16 v11, v11, s16, v38
	v_fma_f16 v27, v27, s16, v22
	;; [unrolled: 1-line block ×4, first 2 shown]
	v_fma_f16 v44, v48, s7, -v44
	v_fma_f16 v50, v49, s7, -v50
	;; [unrolled: 1-line block ×4, first 2 shown]
	v_fma_f16 v48, v29, s17, v53
	v_fma_f16 v49, v10, s17, v56
	v_fma_f16 v9, v9, s6, -v56
	v_fma_f16 v29, v29, s13, -v57
	;; [unrolled: 1-line block ×6, first 2 shown]
	v_add_f16_e32 v34, v34, v11
	v_add_f16_e32 v45, v45, v27
	;; [unrolled: 1-line block ×6, first 2 shown]
	v_fma_f16 v33, v36, s14, v48
	v_fma_f16 v43, v8, s14, v49
	;; [unrolled: 1-line block ×5, first 2 shown]
	v_pack_b32_f16 v6, v6, v35
	v_pack_b32_f16 v4, v4, v7
	v_fma_f16 v31, v36, s14, v31
	v_add_f16_e32 v10, v43, v34
	v_sub_f16_e32 v36, v45, v33
	v_add_f16_e32 v48, v8, v11
	v_sub_f16_e32 v49, v27, v29
	v_sub_f16_e32 v53, v44, v9
	v_add_f16_e32 v9, v9, v44
	v_sub_f16_e32 v8, v11, v8
	v_add_f16_e32 v11, v29, v27
	;; [unrolled: 2-line block ×3, first 2 shown]
	v_add_f16_e32 v33, v46, v47
	v_add_f16_e32 v34, v12, v42
	v_sub_f16_e32 v12, v12, v42
	v_add_f16_e32 v42, v32, v23
	v_add_f16_e32 v44, v13, v28
	ds_write_b32 v87, v6 offset:864
	v_pack_b32_f16 v6, v51, v52
	v_pack_b32_f16 v5, v5, v20
	ds_write_b32 v87, v4 offset:4320
	v_pack_b32_f16 v4, v24, v26
	v_add_f16_e32 v56, v31, v50
	v_sub_f16_e32 v23, v32, v23
	v_sub_f16_e32 v13, v13, v28
	v_add_f16_e32 v28, v25, v30
	v_add_f16_e32 v32, v14, v15
	v_sub_f16_e32 v25, v30, v25
	v_sub_f16_e32 v14, v15, v14
	v_add_f16_e32 v15, v42, v33
	v_add_f16_e32 v30, v44, v34
	v_pack_b32_f16 v21, v37, v21
	ds_write_b32 v87, v6 offset:1728
	v_pack_b32_f16 v6, v54, v55
	ds_write_b32 v87, v5 offset:3456
	ds_write_b32 v87, v4 offset:5184
	v_pack_b32_f16 v4, v38, v22
	v_pack_b32_f16 v5, v48, v49
	v_sub_f16_e32 v31, v50, v31
	v_sub_f16_e32 v43, v46, v47
	;; [unrolled: 1-line block ×8, first 2 shown]
	v_add_f16_e32 v47, v25, v23
	v_add_f16_e32 v50, v14, v13
	v_sub_f16_e32 v57, v25, v23
	v_sub_f16_e32 v58, v14, v13
	v_add_f16_e32 v15, v28, v15
	v_add_f16_e32 v28, v32, v30
	ds_write_b32 v87, v6 offset:2592
	ds_write2_b32 v87, v21, v4 offset1:63
	ds_write_b32 v87, v5 offset:1980
	v_pack_b32_f16 v5, v53, v56
	v_sub_f16_e32 v25, v43, v25
	v_sub_f16_e32 v14, v12, v14
	;; [unrolled: 1-line block ×4, first 2 shown]
	v_add_f16_e32 v30, v47, v43
	v_add_f16_e32 v12, v50, v12
	;; [unrolled: 1-line block ×3, first 2 shown]
	v_add_f16_sdwa v19, v19, v28 dst_sel:DWORD dst_unused:UNUSED_PAD src0_sel:WORD_1 src1_sel:DWORD
	v_mul_f16_e32 v33, 0x3a52, v33
	v_mul_f16_e32 v34, 0x3a52, v34
	;; [unrolled: 1-line block ×6, first 2 shown]
	ds_write_b32 v87, v5 offset:2844
	v_pack_b32_f16 v5, v9, v31
	v_mul_f16_e32 v58, 0xbb00, v23
	v_mul_f16_e32 v59, 0xbb00, v13
	v_fma_f16 v15, v15, s16, v32
	v_fma_f16 v28, v28, s16, v19
	;; [unrolled: 1-line block ×4, first 2 shown]
	v_fma_f16 v43, v45, s7, -v43
	v_fma_f16 v47, v46, s7, -v47
	v_fma_f16 v33, v45, s12, -v33
	v_fma_f16 v34, v46, s12, -v34
	v_fma_f16 v45, v25, s17, v50
	v_fma_f16 v46, v14, s17, v57
	ds_write_b32 v87, v5 offset:3708
	v_pack_b32_f16 v5, v8, v11
	v_fma_f16 v23, v23, s6, -v50
	v_fma_f16 v13, v13, s6, -v57
	;; [unrolled: 1-line block ×4, first 2 shown]
	v_add_f16_e32 v42, v42, v15
	v_add_f16_e32 v44, v44, v28
	;; [unrolled: 1-line block ×6, first 2 shown]
	v_fma_f16 v33, v30, s14, v45
	v_fma_f16 v34, v12, s14, v46
	ds_write_b32 v87, v5 offset:4572
	v_pack_b32_f16 v5, v27, v29
	v_fma_f16 v23, v30, s14, v23
	v_fma_f16 v13, v12, s14, v13
	;; [unrolled: 1-line block ×4, first 2 shown]
	v_add_f16_e32 v14, v34, v42
	v_sub_f16_e32 v30, v44, v33
	ds_write_b32 v87, v5 offset:5436
	v_pack_b32_f16 v5, v32, v19
	v_add_f16_e32 v45, v12, v15
	v_sub_f16_e32 v46, v28, v25
	v_pack_b32_f16 v4, v10, v36
	ds_write_b32 v87, v5 offset:504
	v_pack_b32_f16 v5, v14, v30
	v_sub_f16_e32 v50, v43, v13
	v_add_f16_e32 v57, v23, v47
	ds_write2_b32 v82, v4, v5 offset0:23 offset1:86
	v_pack_b32_f16 v4, v45, v46
	v_add_f16_e32 v13, v13, v43
	v_sub_f16_e32 v23, v47, v23
	ds_write_b32 v87, v4 offset:2232
	v_pack_b32_f16 v4, v50, v57
	v_sub_f16_e32 v12, v15, v12
	v_add_f16_e32 v15, v25, v28
	ds_write_b32 v87, v4 offset:3096
	v_pack_b32_f16 v4, v13, v23
	v_sub_f16_e32 v25, v42, v34
	v_add_f16_e32 v28, v33, v44
	ds_write_b32 v87, v4 offset:3960
	v_pack_b32_f16 v4, v12, v15
	ds_write_b32 v87, v4 offset:4824
	v_pack_b32_f16 v4, v25, v28
	ds_write_b32 v87, v4 offset:5688
	s_and_saveexec_b64 s[4:5], s[0:1]
	s_cbranch_execz .LBB0_9
; %bb.8:
	v_mul_f16_sdwa v4, v0, v41 dst_sel:DWORD dst_unused:UNUSED_PAD src0_sel:WORD_1 src1_sel:DWORD
	v_mul_f16_sdwa v8, v2, v78 dst_sel:DWORD dst_unused:UNUSED_PAD src0_sel:WORD_1 src1_sel:DWORD
	;; [unrolled: 1-line block ×3, first 2 shown]
	v_fma_f16 v4, v0, v18, v4
	v_mul_f16_sdwa v5, v68, v81 dst_sel:DWORD dst_unused:UNUSED_PAD src0_sel:WORD_1 src1_sel:DWORD
	v_mul_f16_sdwa v7, v3, v79 dst_sel:DWORD dst_unused:UNUSED_PAD src0_sel:WORD_1 src1_sel:DWORD
	v_fma_f16 v8, v2, v74, v8
	v_mul_f16_sdwa v11, v1, v40 dst_sel:DWORD dst_unused:UNUSED_PAD src0_sel:WORD_1 src1_sel:DWORD
	v_mul_f16_sdwa v12, v67, v77 dst_sel:DWORD dst_unused:UNUSED_PAD src0_sel:WORD_1 src1_sel:DWORD
	;; [unrolled: 1-line block ×4, first 2 shown]
	v_fma_f16 v2, v2, v78, -v20
	v_mul_f16_sdwa v20, v3, v75 dst_sel:DWORD dst_unused:UNUSED_PAD src0_sel:WORD_1 src1_sel:DWORD
	v_mul_f16_sdwa v22, v67, v76 dst_sel:DWORD dst_unused:UNUSED_PAD src0_sel:WORD_1 src1_sel:DWORD
	;; [unrolled: 1-line block ×3, first 2 shown]
	v_fma_f16 v5, v68, v80, v5
	v_fma_f16 v7, v3, v75, v7
	;; [unrolled: 1-line block ×4, first 2 shown]
	v_fma_f16 v19, v68, v81, -v19
	v_fma_f16 v0, v0, v41, -v18
	;; [unrolled: 1-line block ×5, first 2 shown]
	v_sub_f16_e32 v6, v4, v5
	v_sub_f16_e32 v9, v7, v8
	;; [unrolled: 1-line block ×3, first 2 shown]
	v_add_f16_e32 v18, v19, v0
	v_add_f16_e32 v20, v2, v3
	;; [unrolled: 1-line block ×3, first 2 shown]
	v_sub_f16_e32 v0, v0, v19
	v_sub_f16_e32 v2, v3, v2
	;; [unrolled: 1-line block ×5, first 2 shown]
	v_add_f16_e32 v9, v9, v13
	v_add_f16_e32 v4, v5, v4
	;; [unrolled: 1-line block ×4, first 2 shown]
	v_sub_f16_e32 v3, v0, v2
	v_sub_f16_e32 v19, v2, v1
	v_add_f16_e32 v2, v2, v1
	v_add_f16_e32 v9, v9, v6
	;; [unrolled: 1-line block ×5, first 2 shown]
	v_sub_f16_e32 v6, v13, v6
	v_sub_f16_e32 v0, v1, v0
	v_mul_f16_e32 v14, 0x3846, v14
	v_sub_f16_e32 v21, v18, v20
	v_sub_f16_e32 v24, v20, v23
	v_add_f16_e32 v20, v20, v26
	v_sub_f16_e32 v7, v4, v5
	v_sub_f16_e32 v11, v5, v8
	v_add_f16_e32 v5, v5, v28
	v_mul_f16_e32 v19, 0x3846, v19
	v_mul_f16_e32 v13, 0xbb00, v6
	v_mul_f16_e32 v1, 0xbb00, v0
	v_fma_f16 v15, v10, s17, v14
	v_mul_f16_e32 v21, 0x3a52, v21
	v_mul_f16_e32 v25, 0x2b26, v24
	v_add_f16_e32 v26, v39, v20
	v_mul_f16_e32 v7, 0x3a52, v7
	v_mul_f16_e32 v12, 0x2b26, v11
	v_add_f16_e32 v17, v17, v5
	v_fma_f16 v22, v3, s17, v19
	v_fma_f16 v10, v10, s13, -v13
	v_sub_f16_e32 v13, v23, v18
	v_sub_f16_e32 v4, v8, v4
	v_fma_f16 v1, v3, s13, -v1
	v_fma_f16 v0, v0, s6, -v19
	v_fma_f16 v24, v24, s15, v21
	v_fma_f16 v20, v20, s16, v26
	;; [unrolled: 1-line block ×5, first 2 shown]
	v_fma_f16 v18, v13, s12, -v21
	v_fma_f16 v7, v4, s12, -v7
	v_fma_f16 v1, v2, s14, v1
	v_fma_f16 v8, v13, s7, -v25
	v_fma_f16 v6, v6, s6, -v14
	v_fma_f16 v0, v2, s14, v0
	v_fma_f16 v2, v4, s7, -v12
	v_fma_f16 v15, v9, s14, v15
	v_add_f16_e32 v24, v24, v20
	v_add_f16_e32 v11, v11, v5
	v_fma_f16 v10, v9, s14, v10
	v_add_f16_e32 v18, v18, v20
	v_add_f16_e32 v7, v7, v5
	;; [unrolled: 1-line block ×3, first 2 shown]
	v_fma_f16 v6, v9, s14, v6
	v_add_f16_e32 v2, v2, v5
	v_sub_f16_e32 v3, v7, v1
	v_sub_f16_e32 v9, v8, v6
	v_add_f16_e32 v4, v0, v2
	v_add_f16_e32 v5, v6, v8
	v_sub_f16_e32 v0, v2, v0
	v_sub_f16_e32 v2, v18, v10
	v_add_f16_e32 v1, v1, v7
	v_sub_f16_e32 v6, v24, v15
	v_add_f16_e32 v7, v22, v11
	v_add_f16_e32 v21, v10, v18
	v_pack_b32_f16 v8, v17, v26
	v_pack_b32_f16 v6, v7, v6
	v_add_u32_e32 v7, 0x280, v87
	v_pack_b32_f16 v1, v1, v2
	v_pack_b32_f16 v0, v0, v5
	v_add_u32_e32 v2, 0x980, v87
	v_add_f16_e32 v27, v15, v24
	v_sub_f16_e32 v28, v11, v22
	ds_write2_b32 v7, v8, v6 offset0:29 offset1:245
	ds_write2_b32 v2, v1, v0 offset0:13 offset1:229
	v_pack_b32_f16 v0, v4, v9
	v_pack_b32_f16 v1, v3, v21
	v_add_u32_e32 v2, 0x1000, v87
	ds_write2_b32 v2, v0, v1 offset0:29 offset1:245
	v_pack_b32_f16 v0, v28, v27
	ds_write_b32 v87, v0 offset:5940
.LBB0_9:
	s_or_b64 exec, exec, s[4:5]
	s_waitcnt lgkmcnt(0)
	; wave barrier
	s_waitcnt lgkmcnt(0)
	ds_read2_b32 v[0:1], v87 offset1:63
	s_mov_b32 s4, 0x6b015ac0
	s_mov_b32 s5, 0x3f45ac05
	v_mad_u64_u32 v[4:5], s[0:1], s10, v16, 0
	s_waitcnt lgkmcnt(0)
	v_lshrrev_b32_e32 v7, 16, v0
	v_mul_f16_sdwa v2, v112, v7 dst_sel:DWORD dst_unused:UNUSED_PAD src0_sel:WORD_1 src1_sel:DWORD
	v_fma_f16 v2, v112, v0, v2
	v_cvt_f32_f16_e32 v2, v2
	s_movk_i32 s6, 0x1ff
	v_mad_u64_u32 v[5:6], s[0:1], s11, v16, v[5:6]
	v_cvt_f64_f32_e32 v[2:3], v2
	s_movk_i32 s7, 0xffe
	v_mul_f16_sdwa v0, v112, v0 dst_sel:DWORD dst_unused:UNUSED_PAD src0_sel:WORD_1 src1_sel:DWORD
	v_fma_f16 v0, v112, v7, -v0
	v_mul_f64 v[2:3], v[2:3], s[4:5]
	v_cvt_f32_f16_e32 v7, v0
	v_mov_b32_e32 v0, 0x7c00
	s_movk_i32 s10, 0x40f
	s_mov_b32 s11, 0x8000
	v_and_or_b32 v2, v3, s6, v2
	v_cmp_ne_u32_e32 vcc, 0, v2
	v_lshrrev_b32_e32 v6, 8, v3
	v_bfe_u32 v8, v3, 20, 11
	v_cndmask_b32_e64 v2, 0, 1, vcc
	v_sub_u32_e32 v9, 0x3f1, v8
	v_and_or_b32 v2, v6, s7, v2
	v_or_b32_e32 v6, 0x1000, v2
	v_med3_i32 v9, v9, 0, 13
	v_lshrrev_b32_e32 v10, v9, v6
	v_lshlrev_b32_e32 v9, v9, v10
	v_cmp_ne_u32_e32 vcc, v9, v6
	v_cndmask_b32_e64 v6, 0, 1, vcc
	v_add_u32_e32 v8, 0xfffffc10, v8
	v_or_b32_e32 v6, v10, v6
	v_lshl_or_b32 v9, v8, 12, v2
	v_cmp_gt_i32_e32 vcc, 1, v8
	v_cndmask_b32_e32 v6, v9, v6, vcc
	v_and_b32_e32 v9, 7, v6
	v_cmp_lt_i32_e32 vcc, 5, v9
	v_cmp_eq_u32_e64 s[0:1], 3, v9
	v_lshrrev_b32_e32 v6, 2, v6
	s_or_b64 vcc, s[0:1], vcc
	v_addc_co_u32_e32 v9, vcc, 0, v6, vcc
	v_cvt_f64_f32_e32 v[6:7], v7
	v_cmp_gt_i32_e32 vcc, 31, v8
	v_cndmask_b32_e32 v9, v0, v9, vcc
	v_cmp_ne_u32_e32 vcc, 0, v2
	v_mul_f64 v[6:7], v[6:7], s[4:5]
	v_cndmask_b32_e64 v2, 0, 1, vcc
	v_lshl_or_b32 v2, v2, 9, v0
	v_cmp_eq_u32_e32 vcc, s10, v8
	v_cndmask_b32_e32 v2, v9, v2, vcc
	v_lshrrev_b32_e32 v3, 16, v3
	v_and_or_b32 v10, v3, s11, v2
	v_and_b32_e32 v10, 0xffff, v10
	v_and_or_b32 v2, v7, s6, v6
	v_cmp_ne_u32_e32 vcc, 0, v2
	v_cndmask_b32_e64 v2, 0, 1, vcc
	v_lshrrev_b32_e32 v3, 8, v7
	v_bfe_u32 v6, v7, 20, 11
	v_and_or_b32 v2, v3, s7, v2
	v_sub_u32_e32 v8, 0x3f1, v6
	v_or_b32_e32 v3, 0x1000, v2
	v_med3_i32 v8, v8, 0, 13
	v_lshrrev_b32_e32 v9, v8, v3
	v_lshlrev_b32_e32 v8, v8, v9
	v_cmp_ne_u32_e32 vcc, v8, v3
	v_cndmask_b32_e64 v3, 0, 1, vcc
	v_add_u32_e32 v6, 0xfffffc10, v6
	v_or_b32_e32 v3, v9, v3
	v_lshl_or_b32 v8, v6, 12, v2
	v_cmp_gt_i32_e32 vcc, 1, v6
	v_cndmask_b32_e32 v3, v8, v3, vcc
	v_and_b32_e32 v8, 7, v3
	v_cmp_lt_i32_e32 vcc, 5, v8
	v_cmp_eq_u32_e64 s[0:1], 3, v8
	v_lshrrev_b32_e32 v3, 2, v3
	s_or_b64 vcc, s[0:1], vcc
	v_addc_co_u32_e32 v3, vcc, 0, v3, vcc
	v_cmp_gt_i32_e32 vcc, 31, v6
	v_cndmask_b32_e32 v3, v0, v3, vcc
	v_cmp_ne_u32_e32 vcc, 0, v2
	v_cndmask_b32_e64 v2, 0, 1, vcc
	v_cmp_eq_u32_e32 vcc, s10, v6
	v_add_u32_e32 v6, 0xa00, v87
	v_lshrrev_b32_e32 v9, 16, v7
	ds_read2_b32 v[6:7], v6 offset0:116 offset1:179
	v_lshl_or_b32 v2, v2, 9, v0
	v_cndmask_b32_e32 v8, v3, v2, vcc
	v_mad_u64_u32 v[2:3], s[0:1], s8, v111, 0
	s_waitcnt lgkmcnt(0)
	v_lshrrev_b32_e32 v12, 16, v6
	v_and_or_b32 v11, v9, s11, v8
	v_mad_u64_u32 v[8:9], s[0:1], s9, v111, v[3:4]
	v_mul_f16_sdwa v3, v110, v12 dst_sel:DWORD dst_unused:UNUSED_PAD src0_sel:WORD_1 src1_sel:DWORD
	v_fma_f16 v3, v110, v6, v3
	v_cvt_f32_f16_e32 v9, v3
	v_mov_b32_e32 v3, v8
	v_lshlrev_b64 v[4:5], 2, v[4:5]
	v_lshl_or_b32 v10, v11, 16, v10
	v_cvt_f64_f32_e32 v[8:9], v9
	v_mov_b32_e32 v11, s3
	v_add_co_u32_e32 v4, vcc, s2, v4
	v_mul_f64 v[8:9], v[8:9], s[4:5]
	v_lshlrev_b64 v[2:3], 2, v[2:3]
	v_addc_co_u32_e32 v5, vcc, v11, v5, vcc
	v_add_co_u32_e32 v2, vcc, v4, v2
	v_addc_co_u32_e32 v3, vcc, v5, v3, vcc
	v_and_or_b32 v4, v9, s6, v8
	v_cmp_ne_u32_e32 vcc, 0, v4
	v_cndmask_b32_e64 v4, 0, 1, vcc
	v_lshrrev_b32_e32 v5, 8, v9
	v_and_or_b32 v8, v5, s7, v4
	v_bfe_u32 v5, v9, 20, 11
	global_store_dword v[2:3], v10, off
	v_sub_u32_e32 v10, 0x3f1, v5
	v_or_b32_e32 v4, 0x1000, v8
	v_med3_i32 v10, v10, 0, 13
	v_lshrrev_b32_e32 v11, v10, v4
	v_lshlrev_b32_e32 v10, v10, v11
	v_mul_f16_sdwa v6, v110, v6 dst_sel:DWORD dst_unused:UNUSED_PAD src0_sel:WORD_1 src1_sel:DWORD
	v_cmp_ne_u32_e32 vcc, v10, v4
	v_fma_f16 v6, v110, v12, -v6
	v_cndmask_b32_e64 v4, 0, 1, vcc
	v_add_u32_e32 v10, 0xfffffc10, v5
	v_cvt_f32_f16_e32 v6, v6
	v_or_b32_e32 v4, v11, v4
	v_lshl_or_b32 v5, v10, 12, v8
	v_cmp_gt_i32_e32 vcc, 1, v10
	v_cndmask_b32_e32 v4, v5, v4, vcc
	v_and_b32_e32 v5, 7, v4
	v_cmp_lt_i32_e32 vcc, 5, v5
	v_cmp_eq_u32_e64 s[0:1], 3, v5
	v_lshrrev_b32_e32 v11, 2, v4
	v_cvt_f64_f32_e32 v[4:5], v6
	s_or_b64 vcc, s[0:1], vcc
	v_addc_co_u32_e32 v6, vcc, 0, v11, vcc
	v_mul_f64 v[4:5], v[4:5], s[4:5]
	v_cmp_gt_i32_e32 vcc, 31, v10
	v_cndmask_b32_e32 v6, v0, v6, vcc
	v_cmp_ne_u32_e32 vcc, 0, v8
	v_cndmask_b32_e64 v8, 0, 1, vcc
	v_lshl_or_b32 v8, v8, 9, v0
	v_cmp_eq_u32_e32 vcc, s10, v10
	v_cndmask_b32_e32 v6, v6, v8, vcc
	v_and_or_b32 v4, v5, s6, v4
	v_lshrrev_b32_e32 v8, 16, v9
	v_cmp_ne_u32_e32 vcc, 0, v4
	v_and_or_b32 v6, v8, s11, v6
	v_cndmask_b32_e64 v4, 0, 1, vcc
	v_lshrrev_b32_e32 v8, 8, v5
	v_bfe_u32 v9, v5, 20, 11
	v_and_or_b32 v4, v8, s7, v4
	v_sub_u32_e32 v10, 0x3f1, v9
	v_or_b32_e32 v8, 0x1000, v4
	v_med3_i32 v10, v10, 0, 13
	v_lshrrev_b32_e32 v11, v10, v8
	v_lshlrev_b32_e32 v10, v10, v11
	v_cmp_ne_u32_e32 vcc, v10, v8
	v_cndmask_b32_e64 v8, 0, 1, vcc
	v_add_u32_e32 v9, 0xfffffc10, v9
	v_or_b32_e32 v8, v11, v8
	v_lshl_or_b32 v10, v9, 12, v4
	v_cmp_gt_i32_e32 vcc, 1, v9
	v_cndmask_b32_e32 v8, v10, v8, vcc
	v_and_b32_e32 v10, 7, v8
	v_cmp_lt_i32_e32 vcc, 5, v10
	v_cmp_eq_u32_e64 s[0:1], 3, v10
	v_lshrrev_b32_e32 v8, 2, v8
	s_or_b64 vcc, s[0:1], vcc
	v_addc_co_u32_e32 v8, vcc, 0, v8, vcc
	v_cmp_gt_i32_e32 vcc, 31, v9
	v_cndmask_b32_e32 v8, v0, v8, vcc
	v_cmp_ne_u32_e32 vcc, 0, v4
	v_cndmask_b32_e64 v4, 0, 1, vcc
	v_lshl_or_b32 v4, v4, 9, v0
	v_cmp_eq_u32_e32 vcc, s10, v9
	v_cndmask_b32_e32 v4, v8, v4, vcc
	v_lshrrev_b32_e32 v8, 16, v1
	v_mul_f16_sdwa v9, v109, v8 dst_sel:DWORD dst_unused:UNUSED_PAD src0_sel:WORD_1 src1_sel:DWORD
	v_fma_f16 v9, v109, v1, v9
	v_cvt_f32_f16_e32 v9, v9
	v_lshrrev_b32_e32 v5, 16, v5
	v_and_or_b32 v4, v5, s11, v4
	v_and_b32_e32 v5, 0xffff, v6
	v_lshl_or_b32 v6, v4, 16, v5
	v_cvt_f64_f32_e32 v[4:5], v9
	s_mul_i32 s0, s9, 0xbd0
	s_mul_hi_u32 s2, s8, 0xbd0
	s_add_i32 s2, s2, s0
	v_mul_f64 v[4:5], v[4:5], s[4:5]
	s_mul_i32 s3, s8, 0xbd0
	v_mov_b32_e32 v9, s2
	v_add_co_u32_e32 v2, vcc, s3, v2
	v_addc_co_u32_e32 v3, vcc, v3, v9, vcc
	global_store_dword v[2:3], v6, off
	v_and_or_b32 v4, v5, s6, v4
	v_cmp_ne_u32_e32 vcc, 0, v4
	v_cndmask_b32_e64 v4, 0, 1, vcc
	v_lshrrev_b32_e32 v6, 8, v5
	v_bfe_u32 v9, v5, 20, 11
	v_and_or_b32 v4, v6, s7, v4
	v_sub_u32_e32 v10, 0x3f1, v9
	v_or_b32_e32 v6, 0x1000, v4
	v_med3_i32 v10, v10, 0, 13
	v_lshrrev_b32_e32 v11, v10, v6
	v_lshlrev_b32_e32 v10, v10, v11
	v_mul_f16_sdwa v1, v109, v1 dst_sel:DWORD dst_unused:UNUSED_PAD src0_sel:WORD_1 src1_sel:DWORD
	v_cmp_ne_u32_e32 vcc, v10, v6
	v_fma_f16 v1, v109, v8, -v1
	v_cndmask_b32_e64 v6, 0, 1, vcc
	v_add_u32_e32 v10, 0xfffffc10, v9
	v_cvt_f32_f16_e32 v1, v1
	v_or_b32_e32 v6, v11, v6
	v_lshl_or_b32 v9, v10, 12, v4
	v_cmp_gt_i32_e32 vcc, 1, v10
	v_cndmask_b32_e32 v6, v9, v6, vcc
	v_and_b32_e32 v9, 7, v6
	v_cmp_lt_i32_e32 vcc, 5, v9
	v_cmp_eq_u32_e64 s[0:1], 3, v9
	v_cvt_f64_f32_e32 v[8:9], v1
	v_lshrrev_b32_e32 v6, 2, v6
	s_or_b64 vcc, s[0:1], vcc
	v_addc_co_u32_e32 v1, vcc, 0, v6, vcc
	v_mul_f64 v[8:9], v[8:9], s[4:5]
	v_cmp_gt_i32_e32 vcc, 31, v10
	v_cndmask_b32_e32 v1, v0, v1, vcc
	v_cmp_ne_u32_e32 vcc, 0, v4
	v_cndmask_b32_e64 v4, 0, 1, vcc
	v_lshl_or_b32 v4, v4, 9, v0
	v_cmp_eq_u32_e32 vcc, s10, v10
	v_cndmask_b32_e32 v1, v1, v4, vcc
	v_lshrrev_b32_e32 v4, 16, v5
	v_and_or_b32 v1, v4, s11, v1
	v_and_or_b32 v4, v9, s6, v8
	v_cmp_ne_u32_e32 vcc, 0, v4
	v_cndmask_b32_e64 v4, 0, 1, vcc
	v_lshrrev_b32_e32 v5, 8, v9
	v_bfe_u32 v6, v9, 20, 11
	v_and_or_b32 v4, v5, s7, v4
	v_sub_u32_e32 v8, 0x3f1, v6
	v_or_b32_e32 v5, 0x1000, v4
	v_med3_i32 v8, v8, 0, 13
	v_lshrrev_b32_e32 v10, v8, v5
	v_lshlrev_b32_e32 v8, v8, v10
	v_cmp_ne_u32_e32 vcc, v8, v5
	v_cndmask_b32_e64 v5, 0, 1, vcc
	v_add_u32_e32 v6, 0xfffffc10, v6
	v_or_b32_e32 v5, v10, v5
	v_lshl_or_b32 v8, v6, 12, v4
	v_cmp_gt_i32_e32 vcc, 1, v6
	v_cndmask_b32_e32 v5, v8, v5, vcc
	v_and_b32_e32 v8, 7, v5
	v_cmp_lt_i32_e32 vcc, 5, v8
	v_cmp_eq_u32_e64 s[0:1], 3, v8
	v_lshrrev_b32_e32 v5, 2, v5
	s_or_b64 vcc, s[0:1], vcc
	v_addc_co_u32_e32 v5, vcc, 0, v5, vcc
	v_cmp_gt_i32_e32 vcc, 31, v6
	v_cndmask_b32_e32 v5, v0, v5, vcc
	v_cmp_ne_u32_e32 vcc, 0, v4
	v_cndmask_b32_e64 v4, 0, 1, vcc
	v_lshl_or_b32 v4, v4, 9, v0
	v_cmp_eq_u32_e32 vcc, s10, v6
	v_cndmask_b32_e32 v4, v5, v4, vcc
	v_lshrrev_b32_e32 v5, 16, v9
	v_lshrrev_b32_e32 v6, 16, v7
	v_and_or_b32 v4, v5, s11, v4
	v_mul_f16_sdwa v5, v107, v6 dst_sel:DWORD dst_unused:UNUSED_PAD src0_sel:WORD_1 src1_sel:DWORD
	v_fma_f16 v5, v107, v7, v5
	v_cvt_f32_f16_e32 v5, v5
	v_and_b32_e32 v1, 0xffff, v1
	v_lshl_or_b32 v8, v4, 16, v1
	s_mul_hi_u32 s1, s8, 0xfffff52c
	v_cvt_f64_f32_e32 v[4:5], v5
	s_mul_i32 s0, s9, 0xfffff52c
	s_sub_i32 s9, s1, s8
	s_add_i32 s9, s9, s0
	v_mul_f64 v[4:5], v[4:5], s[4:5]
	s_mulk_i32 s8, 0xf52c
	v_mov_b32_e32 v9, s9
	v_add_co_u32_e32 v1, vcc, s8, v2
	v_addc_co_u32_e32 v2, vcc, v3, v9, vcc
	global_store_dword v[1:2], v8, off
	v_and_or_b32 v3, v5, s6, v4
	v_cmp_ne_u32_e32 vcc, 0, v3
	v_cndmask_b32_e64 v3, 0, 1, vcc
	v_lshrrev_b32_e32 v4, 8, v5
	v_and_or_b32 v8, v4, s7, v3
	v_bfe_u32 v4, v5, 20, 11
	v_sub_u32_e32 v9, 0x3f1, v4
	v_or_b32_e32 v3, 0x1000, v8
	v_med3_i32 v9, v9, 0, 13
	v_lshrrev_b32_e32 v10, v9, v3
	v_lshlrev_b32_e32 v9, v9, v10
	v_mul_f16_sdwa v7, v107, v7 dst_sel:DWORD dst_unused:UNUSED_PAD src0_sel:WORD_1 src1_sel:DWORD
	v_cmp_ne_u32_e32 vcc, v9, v3
	v_fma_f16 v6, v107, v6, -v7
	v_cndmask_b32_e64 v3, 0, 1, vcc
	v_add_u32_e32 v9, 0xfffffc10, v4
	v_cvt_f32_f16_e32 v6, v6
	v_or_b32_e32 v3, v10, v3
	v_lshl_or_b32 v4, v9, 12, v8
	v_cmp_gt_i32_e32 vcc, 1, v9
	v_cndmask_b32_e32 v3, v4, v3, vcc
	v_and_b32_e32 v4, 7, v3
	v_cmp_lt_i32_e32 vcc, 5, v4
	v_cmp_eq_u32_e64 s[0:1], 3, v4
	v_lshrrev_b32_e32 v7, 2, v3
	v_cvt_f64_f32_e32 v[3:4], v6
	s_or_b64 vcc, s[0:1], vcc
	v_addc_co_u32_e32 v6, vcc, 0, v7, vcc
	v_mul_f64 v[3:4], v[3:4], s[4:5]
	v_cmp_gt_i32_e32 vcc, 31, v9
	v_cndmask_b32_e32 v6, v0, v6, vcc
	v_cmp_ne_u32_e32 vcc, 0, v8
	v_cndmask_b32_e64 v7, 0, 1, vcc
	v_lshl_or_b32 v7, v7, 9, v0
	v_cmp_eq_u32_e32 vcc, s10, v9
	v_cndmask_b32_e32 v6, v6, v7, vcc
	v_and_or_b32 v3, v4, s6, v3
	v_lshrrev_b32_e32 v5, 16, v5
	v_cmp_ne_u32_e32 vcc, 0, v3
	v_and_or_b32 v9, v5, s11, v6
	v_cndmask_b32_e64 v3, 0, 1, vcc
	v_lshrrev_b32_e32 v5, 8, v4
	v_bfe_u32 v6, v4, 20, 11
	v_and_or_b32 v3, v5, s7, v3
	v_sub_u32_e32 v7, 0x3f1, v6
	v_or_b32_e32 v5, 0x1000, v3
	v_med3_i32 v7, v7, 0, 13
	v_lshrrev_b32_e32 v8, v7, v5
	v_lshlrev_b32_e32 v7, v7, v8
	v_cmp_ne_u32_e32 vcc, v7, v5
	v_cndmask_b32_e64 v5, 0, 1, vcc
	v_add_u32_e32 v7, 0xfffffc10, v6
	v_or_b32_e32 v5, v8, v5
	v_lshl_or_b32 v6, v7, 12, v3
	v_cmp_gt_i32_e32 vcc, 1, v7
	v_cndmask_b32_e32 v5, v6, v5, vcc
	v_and_b32_e32 v6, 7, v5
	v_cmp_lt_i32_e32 vcc, 5, v6
	v_cmp_eq_u32_e64 s[0:1], 3, v6
	v_lshrrev_b32_e32 v5, 2, v5
	s_or_b64 vcc, s[0:1], vcc
	v_addc_co_u32_e32 v8, vcc, 0, v5, vcc
	ds_read2_b32 v[5:6], v87 offset0:126 offset1:189
	v_cmp_gt_i32_e32 vcc, 31, v7
	v_cndmask_b32_e32 v8, v0, v8, vcc
	v_cmp_ne_u32_e32 vcc, 0, v3
	v_cndmask_b32_e64 v3, 0, 1, vcc
	s_waitcnt lgkmcnt(0)
	v_lshrrev_b32_e32 v10, 16, v5
	v_mul_f16_sdwa v11, v108, v10 dst_sel:DWORD dst_unused:UNUSED_PAD src0_sel:WORD_1 src1_sel:DWORD
	v_fma_f16 v11, v108, v5, v11
	v_cvt_f32_f16_e32 v11, v11
	v_lshl_or_b32 v3, v3, 9, v0
	v_cmp_eq_u32_e32 vcc, s10, v7
	v_cndmask_b32_e32 v3, v8, v3, vcc
	v_cvt_f64_f32_e32 v[7:8], v11
	v_lshrrev_b32_e32 v4, 16, v4
	v_and_or_b32 v11, v4, s11, v3
	v_add_co_u32_e32 v1, vcc, s3, v1
	v_mul_f64 v[3:4], v[7:8], s[4:5]
	v_mov_b32_e32 v8, s2
	v_and_b32_e32 v9, 0xffff, v9
	v_addc_co_u32_e32 v2, vcc, v2, v8, vcc
	v_lshl_or_b32 v7, v11, 16, v9
	global_store_dword v[1:2], v7, off
	v_mul_f16_sdwa v5, v108, v5 dst_sel:DWORD dst_unused:UNUSED_PAD src0_sel:WORD_1 src1_sel:DWORD
	v_and_or_b32 v3, v4, s6, v3
	v_cmp_ne_u32_e32 vcc, 0, v3
	v_cndmask_b32_e64 v3, 0, 1, vcc
	v_lshrrev_b32_e32 v7, 8, v4
	v_bfe_u32 v8, v4, 20, 11
	v_and_or_b32 v3, v7, s7, v3
	v_sub_u32_e32 v9, 0x3f1, v8
	v_or_b32_e32 v7, 0x1000, v3
	v_med3_i32 v9, v9, 0, 13
	v_lshrrev_b32_e32 v11, v9, v7
	v_lshlrev_b32_e32 v9, v9, v11
	v_cmp_ne_u32_e32 vcc, v9, v7
	v_fma_f16 v5, v108, v10, -v5
	v_cndmask_b32_e64 v7, 0, 1, vcc
	v_add_u32_e32 v9, 0xfffffc10, v8
	v_cvt_f32_f16_e32 v5, v5
	v_or_b32_e32 v7, v11, v7
	v_lshl_or_b32 v8, v9, 12, v3
	v_cmp_gt_i32_e32 vcc, 1, v9
	v_cndmask_b32_e32 v7, v8, v7, vcc
	v_and_b32_e32 v8, 7, v7
	v_cmp_lt_i32_e32 vcc, 5, v8
	v_cmp_eq_u32_e64 s[0:1], 3, v8
	v_lshrrev_b32_e32 v10, 2, v7
	v_cvt_f64_f32_e32 v[7:8], v5
	s_or_b64 vcc, s[0:1], vcc
	v_addc_co_u32_e32 v5, vcc, 0, v10, vcc
	v_mul_f64 v[7:8], v[7:8], s[4:5]
	v_cmp_gt_i32_e32 vcc, 31, v9
	v_cndmask_b32_e32 v5, v0, v5, vcc
	v_cmp_ne_u32_e32 vcc, 0, v3
	v_cndmask_b32_e64 v3, 0, 1, vcc
	v_lshl_or_b32 v3, v3, 9, v0
	v_cmp_eq_u32_e32 vcc, s10, v9
	v_cndmask_b32_e32 v3, v5, v3, vcc
	v_lshrrev_b32_e32 v4, 16, v4
	v_and_or_b32 v5, v4, s11, v3
	v_and_or_b32 v3, v8, s6, v7
	v_cmp_ne_u32_e32 vcc, 0, v3
	v_cndmask_b32_e64 v3, 0, 1, vcc
	v_lshrrev_b32_e32 v4, 8, v8
	v_and_or_b32 v7, v4, s7, v3
	v_bfe_u32 v4, v8, 20, 11
	v_sub_u32_e32 v9, 0x3f1, v4
	v_or_b32_e32 v3, 0x1000, v7
	v_med3_i32 v9, v9, 0, 13
	v_lshrrev_b32_e32 v10, v9, v3
	v_lshlrev_b32_e32 v9, v9, v10
	v_cmp_ne_u32_e32 vcc, v9, v3
	v_cndmask_b32_e64 v3, 0, 1, vcc
	v_add_u32_e32 v9, 0xfffffc10, v4
	v_or_b32_e32 v3, v10, v3
	v_lshl_or_b32 v4, v9, 12, v7
	v_cmp_gt_i32_e32 vcc, 1, v9
	v_cndmask_b32_e32 v3, v4, v3, vcc
	v_and_b32_e32 v4, 7, v3
	v_cmp_lt_i32_e32 vcc, 5, v4
	v_cmp_eq_u32_e64 s[0:1], 3, v4
	v_lshrrev_b32_e32 v3, 2, v3
	s_or_b64 vcc, s[0:1], vcc
	v_addc_co_u32_e32 v10, vcc, 0, v3, vcc
	v_add_u32_e32 v3, 0xc00, v87
	ds_read2_b32 v[3:4], v3 offset0:114 offset1:177
	v_cmp_gt_i32_e32 vcc, 31, v9
	v_cndmask_b32_e32 v10, v0, v10, vcc
	v_cmp_ne_u32_e32 vcc, 0, v7
	v_cndmask_b32_e64 v7, 0, 1, vcc
	s_waitcnt lgkmcnt(0)
	v_lshrrev_b32_e32 v11, 16, v3
	v_mul_f16_sdwa v12, v105, v11 dst_sel:DWORD dst_unused:UNUSED_PAD src0_sel:WORD_1 src1_sel:DWORD
	v_fma_f16 v12, v105, v3, v12
	v_cvt_f32_f16_e32 v12, v12
	v_lshl_or_b32 v7, v7, 9, v0
	v_cmp_eq_u32_e32 vcc, s10, v9
	v_cndmask_b32_e32 v7, v10, v7, vcc
	v_cvt_f64_f32_e32 v[9:10], v12
	v_lshrrev_b32_e32 v8, 16, v8
	v_and_or_b32 v12, v8, s11, v7
	v_and_b32_e32 v5, 0xffff, v5
	v_mul_f64 v[7:8], v[9:10], s[4:5]
	v_mov_b32_e32 v9, s9
	v_add_co_u32_e32 v1, vcc, s8, v1
	v_lshl_or_b32 v5, v12, 16, v5
	v_addc_co_u32_e32 v2, vcc, v2, v9, vcc
	global_store_dword v[1:2], v5, off
	v_and_or_b32 v5, v8, s6, v7
	v_cmp_ne_u32_e32 vcc, 0, v5
	v_cndmask_b32_e64 v5, 0, 1, vcc
	v_lshrrev_b32_e32 v7, 8, v8
	v_bfe_u32 v9, v8, 20, 11
	v_and_or_b32 v5, v7, s7, v5
	v_sub_u32_e32 v10, 0x3f1, v9
	v_or_b32_e32 v7, 0x1000, v5
	v_med3_i32 v10, v10, 0, 13
	v_lshrrev_b32_e32 v12, v10, v7
	v_lshlrev_b32_e32 v10, v10, v12
	v_cmp_ne_u32_e32 vcc, v10, v7
	v_mul_f16_sdwa v3, v105, v3 dst_sel:DWORD dst_unused:UNUSED_PAD src0_sel:WORD_1 src1_sel:DWORD
	v_cndmask_b32_e64 v7, 0, 1, vcc
	v_fma_f16 v3, v105, v11, -v3
	v_or_b32_e32 v7, v12, v7
	v_add_u32_e32 v12, 0xfffffc10, v9
	v_cvt_f32_f16_e32 v3, v3
	v_lshl_or_b32 v9, v12, 12, v5
	v_cmp_gt_i32_e32 vcc, 1, v12
	v_cndmask_b32_e32 v7, v9, v7, vcc
	v_and_b32_e32 v9, 7, v7
	v_cmp_lt_i32_e32 vcc, 5, v9
	v_cmp_eq_u32_e64 s[0:1], 3, v9
	v_cvt_f64_f32_e32 v[9:10], v3
	v_lshrrev_b32_e32 v7, 2, v7
	s_or_b64 vcc, s[0:1], vcc
	v_addc_co_u32_e32 v3, vcc, 0, v7, vcc
	v_mul_f64 v[9:10], v[9:10], s[4:5]
	v_cmp_gt_i32_e32 vcc, 31, v12
	v_cndmask_b32_e32 v3, v0, v3, vcc
	v_cmp_ne_u32_e32 vcc, 0, v5
	v_cndmask_b32_e64 v5, 0, 1, vcc
	v_lshl_or_b32 v5, v5, 9, v0
	v_cmp_eq_u32_e32 vcc, s10, v12
	v_cndmask_b32_e32 v3, v3, v5, vcc
	v_lshrrev_b32_e32 v5, 16, v8
	v_and_or_b32 v3, v5, s11, v3
	v_and_or_b32 v5, v10, s6, v9
	v_cmp_ne_u32_e32 vcc, 0, v5
	v_cndmask_b32_e64 v5, 0, 1, vcc
	v_lshrrev_b32_e32 v7, 8, v10
	v_bfe_u32 v8, v10, 20, 11
	v_and_or_b32 v5, v7, s7, v5
	v_sub_u32_e32 v9, 0x3f1, v8
	v_or_b32_e32 v7, 0x1000, v5
	v_med3_i32 v9, v9, 0, 13
	v_lshrrev_b32_e32 v11, v9, v7
	v_lshlrev_b32_e32 v9, v9, v11
	v_cmp_ne_u32_e32 vcc, v9, v7
	v_cndmask_b32_e64 v7, 0, 1, vcc
	v_add_u32_e32 v8, 0xfffffc10, v8
	v_or_b32_e32 v7, v11, v7
	v_lshl_or_b32 v9, v8, 12, v5
	v_cmp_gt_i32_e32 vcc, 1, v8
	v_cndmask_b32_e32 v7, v9, v7, vcc
	v_and_b32_e32 v9, 7, v7
	v_cmp_lt_i32_e32 vcc, 5, v9
	v_cmp_eq_u32_e64 s[0:1], 3, v9
	v_lshrrev_b32_e32 v9, 16, v6
	v_lshrrev_b32_e32 v7, 2, v7
	s_or_b64 vcc, s[0:1], vcc
	v_mul_f16_sdwa v11, v106, v9 dst_sel:DWORD dst_unused:UNUSED_PAD src0_sel:WORD_1 src1_sel:DWORD
	v_addc_co_u32_e32 v7, vcc, 0, v7, vcc
	v_fma_f16 v11, v106, v6, v11
	v_cmp_gt_i32_e32 vcc, 31, v8
	v_cvt_f32_f16_e32 v11, v11
	v_cndmask_b32_e32 v7, v0, v7, vcc
	v_cmp_ne_u32_e32 vcc, 0, v5
	v_cndmask_b32_e64 v5, 0, 1, vcc
	v_lshl_or_b32 v5, v5, 9, v0
	v_cmp_eq_u32_e32 vcc, s10, v8
	v_cndmask_b32_e32 v5, v7, v5, vcc
	v_cvt_f64_f32_e32 v[7:8], v11
	v_lshrrev_b32_e32 v10, 16, v10
	v_and_or_b32 v5, v10, s11, v5
	v_and_b32_e32 v3, 0xffff, v3
	v_mul_f64 v[7:8], v[7:8], s[4:5]
	v_lshl_or_b32 v3, v5, 16, v3
	v_mov_b32_e32 v5, s2
	v_add_co_u32_e32 v1, vcc, s3, v1
	v_addc_co_u32_e32 v2, vcc, v2, v5, vcc
	global_store_dword v[1:2], v3, off
	v_and_or_b32 v3, v8, s6, v7
	v_cmp_ne_u32_e32 vcc, 0, v3
	v_cndmask_b32_e64 v3, 0, 1, vcc
	v_lshrrev_b32_e32 v5, 8, v8
	v_bfe_u32 v7, v8, 20, 11
	v_and_or_b32 v3, v5, s7, v3
	v_sub_u32_e32 v10, 0x3f1, v7
	v_or_b32_e32 v5, 0x1000, v3
	v_med3_i32 v10, v10, 0, 13
	v_lshrrev_b32_e32 v11, v10, v5
	v_mul_f16_sdwa v6, v106, v6 dst_sel:DWORD dst_unused:UNUSED_PAD src0_sel:WORD_1 src1_sel:DWORD
	v_lshlrev_b32_e32 v10, v10, v11
	v_fma_f16 v6, v106, v9, -v6
	v_cmp_ne_u32_e32 vcc, v10, v5
	v_cvt_f32_f16_e32 v6, v6
	v_cndmask_b32_e64 v5, 0, 1, vcc
	v_add_u32_e32 v7, 0xfffffc10, v7
	v_or_b32_e32 v5, v11, v5
	v_lshl_or_b32 v10, v7, 12, v3
	v_cmp_gt_i32_e32 vcc, 1, v7
	v_cndmask_b32_e32 v5, v10, v5, vcc
	v_and_b32_e32 v10, 7, v5
	v_lshrrev_b32_e32 v9, 2, v5
	v_cvt_f64_f32_e32 v[5:6], v6
	v_cmp_lt_i32_e32 vcc, 5, v10
	v_cmp_eq_u32_e64 s[0:1], 3, v10
	s_or_b64 vcc, s[0:1], vcc
	v_mul_f64 v[5:6], v[5:6], s[4:5]
	v_addc_co_u32_e32 v9, vcc, 0, v9, vcc
	v_cmp_gt_i32_e32 vcc, 31, v7
	v_cndmask_b32_e32 v9, v0, v9, vcc
	v_cmp_ne_u32_e32 vcc, 0, v3
	v_cndmask_b32_e64 v3, 0, 1, vcc
	v_lshl_or_b32 v3, v3, 9, v0
	v_cmp_eq_u32_e32 vcc, s10, v7
	v_and_or_b32 v5, v6, s6, v5
	v_cndmask_b32_e32 v3, v9, v3, vcc
	v_lshrrev_b32_e32 v7, 16, v8
	v_cmp_ne_u32_e32 vcc, 0, v5
	v_and_or_b32 v3, v7, s11, v3
	v_cndmask_b32_e64 v5, 0, 1, vcc
	v_lshrrev_b32_e32 v7, 8, v6
	v_bfe_u32 v8, v6, 20, 11
	v_and_or_b32 v5, v7, s7, v5
	v_sub_u32_e32 v9, 0x3f1, v8
	v_or_b32_e32 v7, 0x1000, v5
	v_med3_i32 v9, v9, 0, 13
	v_lshrrev_b32_e32 v10, v9, v7
	v_lshlrev_b32_e32 v9, v9, v10
	v_cmp_ne_u32_e32 vcc, v9, v7
	v_cndmask_b32_e64 v7, 0, 1, vcc
	v_add_u32_e32 v8, 0xfffffc10, v8
	v_or_b32_e32 v7, v10, v7
	v_lshl_or_b32 v9, v8, 12, v5
	v_cmp_gt_i32_e32 vcc, 1, v8
	v_cndmask_b32_e32 v7, v9, v7, vcc
	v_and_b32_e32 v9, 7, v7
	v_cmp_lt_i32_e32 vcc, 5, v9
	v_cmp_eq_u32_e64 s[0:1], 3, v9
	v_lshrrev_b32_e32 v9, 16, v4
	v_lshrrev_b32_e32 v7, 2, v7
	s_or_b64 vcc, s[0:1], vcc
	v_mul_f16_sdwa v10, v102, v9 dst_sel:DWORD dst_unused:UNUSED_PAD src0_sel:WORD_1 src1_sel:DWORD
	v_addc_co_u32_e32 v7, vcc, 0, v7, vcc
	v_fma_f16 v10, v102, v4, v10
	v_cmp_gt_i32_e32 vcc, 31, v8
	v_cvt_f32_f16_e32 v10, v10
	v_cndmask_b32_e32 v7, v0, v7, vcc
	v_cmp_ne_u32_e32 vcc, 0, v5
	v_cndmask_b32_e64 v5, 0, 1, vcc
	v_lshl_or_b32 v5, v5, 9, v0
	v_cmp_eq_u32_e32 vcc, s10, v8
	v_cndmask_b32_e32 v5, v7, v5, vcc
	v_cvt_f64_f32_e32 v[7:8], v10
	v_lshrrev_b32_e32 v6, 16, v6
	v_and_or_b32 v10, v6, s11, v5
	v_and_b32_e32 v3, 0xffff, v3
	v_mul_f64 v[5:6], v[7:8], s[4:5]
	v_mov_b32_e32 v7, s9
	v_add_co_u32_e32 v1, vcc, s8, v1
	v_lshl_or_b32 v3, v10, 16, v3
	v_addc_co_u32_e32 v2, vcc, v2, v7, vcc
	global_store_dword v[1:2], v3, off
	v_and_or_b32 v3, v6, s6, v5
	v_cmp_ne_u32_e32 vcc, 0, v3
	v_cndmask_b32_e64 v3, 0, 1, vcc
	v_lshrrev_b32_e32 v5, 8, v6
	v_bfe_u32 v7, v6, 20, 11
	v_and_or_b32 v5, v5, s7, v3
	v_sub_u32_e32 v8, 0x3f1, v7
	v_or_b32_e32 v3, 0x1000, v5
	v_med3_i32 v8, v8, 0, 13
	v_lshrrev_b32_e32 v10, v8, v3
	v_lshlrev_b32_e32 v8, v8, v10
	v_mul_f16_sdwa v4, v102, v4 dst_sel:DWORD dst_unused:UNUSED_PAD src0_sel:WORD_1 src1_sel:DWORD
	v_cmp_ne_u32_e32 vcc, v8, v3
	v_fma_f16 v4, v102, v9, -v4
	v_cndmask_b32_e64 v3, 0, 1, vcc
	v_add_u32_e32 v7, 0xfffffc10, v7
	v_cvt_f32_f16_e32 v4, v4
	v_or_b32_e32 v3, v10, v3
	v_lshl_or_b32 v8, v7, 12, v5
	v_cmp_gt_i32_e32 vcc, 1, v7
	v_cndmask_b32_e32 v3, v8, v3, vcc
	v_and_b32_e32 v8, 7, v3
	v_cmp_lt_i32_e32 vcc, 5, v8
	v_cmp_eq_u32_e64 s[0:1], 3, v8
	v_lshrrev_b32_e32 v8, 2, v3
	v_cvt_f64_f32_e32 v[3:4], v4
	s_or_b64 vcc, s[0:1], vcc
	v_addc_co_u32_e32 v8, vcc, 0, v8, vcc
	v_mul_f64 v[3:4], v[3:4], s[4:5]
	v_cmp_gt_i32_e32 vcc, 31, v7
	v_cndmask_b32_e32 v8, v0, v8, vcc
	v_cmp_ne_u32_e32 vcc, 0, v5
	v_cndmask_b32_e64 v5, 0, 1, vcc
	v_lshl_or_b32 v5, v5, 9, v0
	v_cmp_eq_u32_e32 vcc, s10, v7
	v_cndmask_b32_e32 v5, v8, v5, vcc
	v_and_or_b32 v3, v4, s6, v3
	v_lshrrev_b32_e32 v6, 16, v6
	v_cmp_ne_u32_e32 vcc, 0, v3
	v_and_or_b32 v9, v6, s11, v5
	v_cndmask_b32_e64 v3, 0, 1, vcc
	v_lshrrev_b32_e32 v5, 8, v4
	v_bfe_u32 v6, v4, 20, 11
	v_and_or_b32 v3, v5, s7, v3
	v_sub_u32_e32 v7, 0x3f1, v6
	v_or_b32_e32 v5, 0x1000, v3
	v_med3_i32 v7, v7, 0, 13
	v_lshrrev_b32_e32 v8, v7, v5
	v_lshlrev_b32_e32 v7, v7, v8
	v_cmp_ne_u32_e32 vcc, v7, v5
	v_cndmask_b32_e64 v5, 0, 1, vcc
	v_add_u32_e32 v7, 0xfffffc10, v6
	v_or_b32_e32 v5, v8, v5
	v_lshl_or_b32 v6, v7, 12, v3
	v_cmp_gt_i32_e32 vcc, 1, v7
	v_cndmask_b32_e32 v5, v6, v5, vcc
	v_and_b32_e32 v6, 7, v5
	v_cmp_lt_i32_e32 vcc, 5, v6
	v_cmp_eq_u32_e64 s[0:1], 3, v6
	v_lshrrev_b32_e32 v5, 2, v5
	s_or_b64 vcc, s[0:1], vcc
	v_addc_co_u32_e32 v8, vcc, 0, v5, vcc
	v_add_u32_e32 v5, 0x200, v87
	ds_read2_b32 v[5:6], v5 offset0:124 offset1:187
	v_cmp_gt_i32_e32 vcc, 31, v7
	v_cndmask_b32_e32 v8, v0, v8, vcc
	v_cmp_ne_u32_e32 vcc, 0, v3
	v_cndmask_b32_e64 v3, 0, 1, vcc
	s_waitcnt lgkmcnt(0)
	v_lshrrev_b32_e32 v10, 16, v5
	v_mul_f16_sdwa v11, v103, v10 dst_sel:DWORD dst_unused:UNUSED_PAD src0_sel:WORD_1 src1_sel:DWORD
	v_fma_f16 v11, v103, v5, v11
	v_cvt_f32_f16_e32 v11, v11
	v_lshl_or_b32 v3, v3, 9, v0
	v_cmp_eq_u32_e32 vcc, s10, v7
	v_cndmask_b32_e32 v3, v8, v3, vcc
	v_cvt_f64_f32_e32 v[7:8], v11
	v_lshrrev_b32_e32 v4, 16, v4
	v_and_or_b32 v11, v4, s11, v3
	v_add_co_u32_e32 v1, vcc, s3, v1
	v_mul_f64 v[3:4], v[7:8], s[4:5]
	v_mov_b32_e32 v8, s2
	v_and_b32_e32 v9, 0xffff, v9
	v_addc_co_u32_e32 v2, vcc, v2, v8, vcc
	v_lshl_or_b32 v7, v11, 16, v9
	global_store_dword v[1:2], v7, off
	v_mul_f16_sdwa v5, v103, v5 dst_sel:DWORD dst_unused:UNUSED_PAD src0_sel:WORD_1 src1_sel:DWORD
	v_and_or_b32 v3, v4, s6, v3
	v_cmp_ne_u32_e32 vcc, 0, v3
	v_cndmask_b32_e64 v3, 0, 1, vcc
	v_lshrrev_b32_e32 v7, 8, v4
	v_bfe_u32 v8, v4, 20, 11
	v_and_or_b32 v3, v7, s7, v3
	v_sub_u32_e32 v9, 0x3f1, v8
	v_or_b32_e32 v7, 0x1000, v3
	v_med3_i32 v9, v9, 0, 13
	v_lshrrev_b32_e32 v11, v9, v7
	v_lshlrev_b32_e32 v9, v9, v11
	v_cmp_ne_u32_e32 vcc, v9, v7
	v_fma_f16 v5, v103, v10, -v5
	v_cndmask_b32_e64 v7, 0, 1, vcc
	v_add_u32_e32 v9, 0xfffffc10, v8
	v_cvt_f32_f16_e32 v5, v5
	v_or_b32_e32 v7, v11, v7
	v_lshl_or_b32 v8, v9, 12, v3
	v_cmp_gt_i32_e32 vcc, 1, v9
	v_cndmask_b32_e32 v7, v8, v7, vcc
	v_and_b32_e32 v8, 7, v7
	v_cmp_lt_i32_e32 vcc, 5, v8
	v_cmp_eq_u32_e64 s[0:1], 3, v8
	v_lshrrev_b32_e32 v10, 2, v7
	v_cvt_f64_f32_e32 v[7:8], v5
	s_or_b64 vcc, s[0:1], vcc
	v_addc_co_u32_e32 v5, vcc, 0, v10, vcc
	v_mul_f64 v[7:8], v[7:8], s[4:5]
	v_cmp_gt_i32_e32 vcc, 31, v9
	v_cndmask_b32_e32 v5, v0, v5, vcc
	v_cmp_ne_u32_e32 vcc, 0, v3
	v_cndmask_b32_e64 v3, 0, 1, vcc
	v_lshl_or_b32 v3, v3, 9, v0
	v_cmp_eq_u32_e32 vcc, s10, v9
	v_cndmask_b32_e32 v3, v5, v3, vcc
	v_lshrrev_b32_e32 v4, 16, v4
	v_and_or_b32 v5, v4, s11, v3
	v_and_or_b32 v3, v8, s6, v7
	v_cmp_ne_u32_e32 vcc, 0, v3
	v_cndmask_b32_e64 v3, 0, 1, vcc
	v_lshrrev_b32_e32 v4, 8, v8
	v_and_or_b32 v7, v4, s7, v3
	v_bfe_u32 v4, v8, 20, 11
	v_sub_u32_e32 v9, 0x3f1, v4
	v_or_b32_e32 v3, 0x1000, v7
	v_med3_i32 v9, v9, 0, 13
	v_lshrrev_b32_e32 v10, v9, v3
	v_lshlrev_b32_e32 v9, v9, v10
	v_cmp_ne_u32_e32 vcc, v9, v3
	v_cndmask_b32_e64 v3, 0, 1, vcc
	v_add_u32_e32 v9, 0xfffffc10, v4
	v_or_b32_e32 v3, v10, v3
	v_lshl_or_b32 v4, v9, 12, v7
	v_cmp_gt_i32_e32 vcc, 1, v9
	v_cndmask_b32_e32 v3, v4, v3, vcc
	v_and_b32_e32 v4, 7, v3
	v_cmp_lt_i32_e32 vcc, 5, v4
	v_cmp_eq_u32_e64 s[0:1], 3, v4
	v_lshrrev_b32_e32 v3, 2, v3
	s_or_b64 vcc, s[0:1], vcc
	v_addc_co_u32_e32 v10, vcc, 0, v3, vcc
	v_add_u32_e32 v3, 0xe00, v87
	ds_read2_b32 v[3:4], v3 offset0:112 offset1:175
	v_cmp_gt_i32_e32 vcc, 31, v9
	v_cndmask_b32_e32 v10, v0, v10, vcc
	v_cmp_ne_u32_e32 vcc, 0, v7
	v_cndmask_b32_e64 v7, 0, 1, vcc
	s_waitcnt lgkmcnt(0)
	v_lshrrev_b32_e32 v11, 16, v3
	v_mul_f16_sdwa v12, v104, v11 dst_sel:DWORD dst_unused:UNUSED_PAD src0_sel:WORD_1 src1_sel:DWORD
	v_fma_f16 v12, v104, v3, v12
	v_cvt_f32_f16_e32 v12, v12
	v_lshl_or_b32 v7, v7, 9, v0
	v_cmp_eq_u32_e32 vcc, s10, v9
	v_cndmask_b32_e32 v7, v10, v7, vcc
	v_cvt_f64_f32_e32 v[9:10], v12
	v_lshrrev_b32_e32 v8, 16, v8
	v_and_or_b32 v12, v8, s11, v7
	v_and_b32_e32 v5, 0xffff, v5
	v_mul_f64 v[7:8], v[9:10], s[4:5]
	v_mov_b32_e32 v9, s9
	v_add_co_u32_e32 v1, vcc, s8, v1
	v_lshl_or_b32 v5, v12, 16, v5
	v_addc_co_u32_e32 v2, vcc, v2, v9, vcc
	global_store_dword v[1:2], v5, off
	v_and_or_b32 v5, v8, s6, v7
	v_cmp_ne_u32_e32 vcc, 0, v5
	v_cndmask_b32_e64 v5, 0, 1, vcc
	v_lshrrev_b32_e32 v7, 8, v8
	v_bfe_u32 v9, v8, 20, 11
	v_and_or_b32 v5, v7, s7, v5
	v_sub_u32_e32 v10, 0x3f1, v9
	v_or_b32_e32 v7, 0x1000, v5
	v_med3_i32 v10, v10, 0, 13
	v_lshrrev_b32_e32 v12, v10, v7
	v_lshlrev_b32_e32 v10, v10, v12
	v_cmp_ne_u32_e32 vcc, v10, v7
	v_mul_f16_sdwa v3, v104, v3 dst_sel:DWORD dst_unused:UNUSED_PAD src0_sel:WORD_1 src1_sel:DWORD
	v_cndmask_b32_e64 v7, 0, 1, vcc
	v_fma_f16 v3, v104, v11, -v3
	v_or_b32_e32 v7, v12, v7
	v_add_u32_e32 v12, 0xfffffc10, v9
	v_cvt_f32_f16_e32 v3, v3
	v_lshl_or_b32 v9, v12, 12, v5
	v_cmp_gt_i32_e32 vcc, 1, v12
	v_cndmask_b32_e32 v7, v9, v7, vcc
	v_and_b32_e32 v9, 7, v7
	v_cmp_lt_i32_e32 vcc, 5, v9
	v_cmp_eq_u32_e64 s[0:1], 3, v9
	v_cvt_f64_f32_e32 v[9:10], v3
	v_lshrrev_b32_e32 v7, 2, v7
	s_or_b64 vcc, s[0:1], vcc
	v_addc_co_u32_e32 v3, vcc, 0, v7, vcc
	v_mul_f64 v[9:10], v[9:10], s[4:5]
	v_cmp_gt_i32_e32 vcc, 31, v12
	v_cndmask_b32_e32 v3, v0, v3, vcc
	v_cmp_ne_u32_e32 vcc, 0, v5
	v_cndmask_b32_e64 v5, 0, 1, vcc
	v_lshl_or_b32 v5, v5, 9, v0
	v_cmp_eq_u32_e32 vcc, s10, v12
	v_cndmask_b32_e32 v3, v3, v5, vcc
	v_lshrrev_b32_e32 v5, 16, v8
	v_and_or_b32 v3, v5, s11, v3
	v_and_or_b32 v5, v10, s6, v9
	v_cmp_ne_u32_e32 vcc, 0, v5
	v_cndmask_b32_e64 v5, 0, 1, vcc
	v_lshrrev_b32_e32 v7, 8, v10
	v_bfe_u32 v8, v10, 20, 11
	v_and_or_b32 v5, v7, s7, v5
	v_sub_u32_e32 v9, 0x3f1, v8
	v_or_b32_e32 v7, 0x1000, v5
	v_med3_i32 v9, v9, 0, 13
	v_lshrrev_b32_e32 v11, v9, v7
	v_lshlrev_b32_e32 v9, v9, v11
	v_cmp_ne_u32_e32 vcc, v9, v7
	v_cndmask_b32_e64 v7, 0, 1, vcc
	v_add_u32_e32 v8, 0xfffffc10, v8
	v_or_b32_e32 v7, v11, v7
	v_lshl_or_b32 v9, v8, 12, v5
	v_cmp_gt_i32_e32 vcc, 1, v8
	v_cndmask_b32_e32 v7, v9, v7, vcc
	v_and_b32_e32 v9, 7, v7
	v_cmp_lt_i32_e32 vcc, 5, v9
	v_cmp_eq_u32_e64 s[0:1], 3, v9
	v_lshrrev_b32_e32 v9, 16, v6
	v_lshrrev_b32_e32 v7, 2, v7
	s_or_b64 vcc, s[0:1], vcc
	v_mul_f16_sdwa v11, v100, v9 dst_sel:DWORD dst_unused:UNUSED_PAD src0_sel:WORD_1 src1_sel:DWORD
	v_addc_co_u32_e32 v7, vcc, 0, v7, vcc
	v_fma_f16 v11, v100, v6, v11
	v_cmp_gt_i32_e32 vcc, 31, v8
	v_cvt_f32_f16_e32 v11, v11
	v_cndmask_b32_e32 v7, v0, v7, vcc
	v_cmp_ne_u32_e32 vcc, 0, v5
	v_cndmask_b32_e64 v5, 0, 1, vcc
	v_lshl_or_b32 v5, v5, 9, v0
	v_cmp_eq_u32_e32 vcc, s10, v8
	v_cndmask_b32_e32 v5, v7, v5, vcc
	v_cvt_f64_f32_e32 v[7:8], v11
	v_lshrrev_b32_e32 v10, 16, v10
	v_and_or_b32 v5, v10, s11, v5
	v_and_b32_e32 v3, 0xffff, v3
	v_mul_f64 v[7:8], v[7:8], s[4:5]
	v_lshl_or_b32 v3, v5, 16, v3
	v_mov_b32_e32 v5, s2
	v_add_co_u32_e32 v1, vcc, s3, v1
	v_addc_co_u32_e32 v2, vcc, v2, v5, vcc
	global_store_dword v[1:2], v3, off
	v_and_or_b32 v3, v8, s6, v7
	v_cmp_ne_u32_e32 vcc, 0, v3
	v_cndmask_b32_e64 v3, 0, 1, vcc
	v_lshrrev_b32_e32 v5, 8, v8
	v_bfe_u32 v7, v8, 20, 11
	v_and_or_b32 v3, v5, s7, v3
	v_sub_u32_e32 v10, 0x3f1, v7
	v_or_b32_e32 v5, 0x1000, v3
	v_med3_i32 v10, v10, 0, 13
	v_lshrrev_b32_e32 v11, v10, v5
	v_mul_f16_sdwa v6, v100, v6 dst_sel:DWORD dst_unused:UNUSED_PAD src0_sel:WORD_1 src1_sel:DWORD
	v_lshlrev_b32_e32 v10, v10, v11
	v_fma_f16 v6, v100, v9, -v6
	v_cmp_ne_u32_e32 vcc, v10, v5
	v_cvt_f32_f16_e32 v6, v6
	v_cndmask_b32_e64 v5, 0, 1, vcc
	v_add_u32_e32 v7, 0xfffffc10, v7
	v_or_b32_e32 v5, v11, v5
	v_lshl_or_b32 v10, v7, 12, v3
	v_cmp_gt_i32_e32 vcc, 1, v7
	v_cndmask_b32_e32 v5, v10, v5, vcc
	v_and_b32_e32 v10, 7, v5
	v_lshrrev_b32_e32 v9, 2, v5
	v_cvt_f64_f32_e32 v[5:6], v6
	v_cmp_lt_i32_e32 vcc, 5, v10
	v_cmp_eq_u32_e64 s[0:1], 3, v10
	s_or_b64 vcc, s[0:1], vcc
	v_mul_f64 v[5:6], v[5:6], s[4:5]
	v_addc_co_u32_e32 v9, vcc, 0, v9, vcc
	v_cmp_gt_i32_e32 vcc, 31, v7
	v_cndmask_b32_e32 v9, v0, v9, vcc
	v_cmp_ne_u32_e32 vcc, 0, v3
	v_cndmask_b32_e64 v3, 0, 1, vcc
	v_lshl_or_b32 v3, v3, 9, v0
	v_cmp_eq_u32_e32 vcc, s10, v7
	v_and_or_b32 v5, v6, s6, v5
	v_cndmask_b32_e32 v3, v9, v3, vcc
	v_lshrrev_b32_e32 v7, 16, v8
	v_cmp_ne_u32_e32 vcc, 0, v5
	v_and_or_b32 v3, v7, s11, v3
	v_cndmask_b32_e64 v5, 0, 1, vcc
	v_lshrrev_b32_e32 v7, 8, v6
	v_bfe_u32 v8, v6, 20, 11
	v_and_or_b32 v5, v7, s7, v5
	v_sub_u32_e32 v9, 0x3f1, v8
	v_or_b32_e32 v7, 0x1000, v5
	v_med3_i32 v9, v9, 0, 13
	v_lshrrev_b32_e32 v10, v9, v7
	v_lshlrev_b32_e32 v9, v9, v10
	v_cmp_ne_u32_e32 vcc, v9, v7
	v_cndmask_b32_e64 v7, 0, 1, vcc
	v_add_u32_e32 v8, 0xfffffc10, v8
	v_or_b32_e32 v7, v10, v7
	v_lshl_or_b32 v9, v8, 12, v5
	v_cmp_gt_i32_e32 vcc, 1, v8
	v_cndmask_b32_e32 v7, v9, v7, vcc
	v_and_b32_e32 v9, 7, v7
	v_cmp_lt_i32_e32 vcc, 5, v9
	v_cmp_eq_u32_e64 s[0:1], 3, v9
	v_lshrrev_b32_e32 v9, 16, v4
	v_lshrrev_b32_e32 v7, 2, v7
	s_or_b64 vcc, s[0:1], vcc
	v_mul_f16_sdwa v10, v101, v9 dst_sel:DWORD dst_unused:UNUSED_PAD src0_sel:WORD_1 src1_sel:DWORD
	v_addc_co_u32_e32 v7, vcc, 0, v7, vcc
	v_fma_f16 v10, v101, v4, v10
	v_cmp_gt_i32_e32 vcc, 31, v8
	v_cvt_f32_f16_e32 v10, v10
	v_cndmask_b32_e32 v7, v0, v7, vcc
	v_cmp_ne_u32_e32 vcc, 0, v5
	v_cndmask_b32_e64 v5, 0, 1, vcc
	v_lshl_or_b32 v5, v5, 9, v0
	v_cmp_eq_u32_e32 vcc, s10, v8
	v_cndmask_b32_e32 v5, v7, v5, vcc
	v_cvt_f64_f32_e32 v[7:8], v10
	v_lshrrev_b32_e32 v6, 16, v6
	v_and_or_b32 v10, v6, s11, v5
	v_and_b32_e32 v3, 0xffff, v3
	v_mul_f64 v[5:6], v[7:8], s[4:5]
	v_mov_b32_e32 v7, s9
	v_add_co_u32_e32 v1, vcc, s8, v1
	v_lshl_or_b32 v3, v10, 16, v3
	v_addc_co_u32_e32 v2, vcc, v2, v7, vcc
	global_store_dword v[1:2], v3, off
	v_and_or_b32 v3, v6, s6, v5
	v_cmp_ne_u32_e32 vcc, 0, v3
	v_cndmask_b32_e64 v3, 0, 1, vcc
	v_lshrrev_b32_e32 v5, 8, v6
	v_bfe_u32 v7, v6, 20, 11
	v_and_or_b32 v5, v5, s7, v3
	v_sub_u32_e32 v8, 0x3f1, v7
	v_or_b32_e32 v3, 0x1000, v5
	v_med3_i32 v8, v8, 0, 13
	v_lshrrev_b32_e32 v10, v8, v3
	v_lshlrev_b32_e32 v8, v8, v10
	v_mul_f16_sdwa v4, v101, v4 dst_sel:DWORD dst_unused:UNUSED_PAD src0_sel:WORD_1 src1_sel:DWORD
	v_cmp_ne_u32_e32 vcc, v8, v3
	v_fma_f16 v4, v101, v9, -v4
	v_cndmask_b32_e64 v3, 0, 1, vcc
	v_add_u32_e32 v7, 0xfffffc10, v7
	v_cvt_f32_f16_e32 v4, v4
	v_or_b32_e32 v3, v10, v3
	v_lshl_or_b32 v8, v7, 12, v5
	v_cmp_gt_i32_e32 vcc, 1, v7
	v_cndmask_b32_e32 v3, v8, v3, vcc
	v_and_b32_e32 v8, 7, v3
	v_cmp_lt_i32_e32 vcc, 5, v8
	v_cmp_eq_u32_e64 s[0:1], 3, v8
	v_lshrrev_b32_e32 v8, 2, v3
	v_cvt_f64_f32_e32 v[3:4], v4
	s_or_b64 vcc, s[0:1], vcc
	v_addc_co_u32_e32 v8, vcc, 0, v8, vcc
	v_mul_f64 v[3:4], v[3:4], s[4:5]
	v_cmp_gt_i32_e32 vcc, 31, v7
	v_cndmask_b32_e32 v8, v0, v8, vcc
	v_cmp_ne_u32_e32 vcc, 0, v5
	v_cndmask_b32_e64 v5, 0, 1, vcc
	v_lshl_or_b32 v5, v5, 9, v0
	v_cmp_eq_u32_e32 vcc, s10, v7
	v_cndmask_b32_e32 v5, v8, v5, vcc
	v_and_or_b32 v3, v4, s6, v3
	v_lshrrev_b32_e32 v6, 16, v6
	v_cmp_ne_u32_e32 vcc, 0, v3
	v_and_or_b32 v9, v6, s11, v5
	v_cndmask_b32_e64 v3, 0, 1, vcc
	v_lshrrev_b32_e32 v5, 8, v4
	v_bfe_u32 v6, v4, 20, 11
	v_and_or_b32 v3, v5, s7, v3
	v_sub_u32_e32 v7, 0x3f1, v6
	v_or_b32_e32 v5, 0x1000, v3
	v_med3_i32 v7, v7, 0, 13
	v_lshrrev_b32_e32 v8, v7, v5
	v_lshlrev_b32_e32 v7, v7, v8
	v_cmp_ne_u32_e32 vcc, v7, v5
	v_cndmask_b32_e64 v5, 0, 1, vcc
	v_add_u32_e32 v7, 0xfffffc10, v6
	v_or_b32_e32 v5, v8, v5
	v_lshl_or_b32 v6, v7, 12, v3
	v_cmp_gt_i32_e32 vcc, 1, v7
	v_cndmask_b32_e32 v5, v6, v5, vcc
	v_and_b32_e32 v6, 7, v5
	v_cmp_lt_i32_e32 vcc, 5, v6
	v_cmp_eq_u32_e64 s[0:1], 3, v6
	v_lshrrev_b32_e32 v5, 2, v5
	s_or_b64 vcc, s[0:1], vcc
	v_addc_co_u32_e32 v8, vcc, 0, v5, vcc
	v_add_u32_e32 v5, 0x400, v87
	ds_read2_b32 v[5:6], v5 offset0:122 offset1:185
	v_cmp_gt_i32_e32 vcc, 31, v7
	v_cndmask_b32_e32 v8, v0, v8, vcc
	v_cmp_ne_u32_e32 vcc, 0, v3
	v_cndmask_b32_e64 v3, 0, 1, vcc
	s_waitcnt lgkmcnt(0)
	v_lshrrev_b32_e32 v10, 16, v5
	v_mul_f16_sdwa v11, v98, v10 dst_sel:DWORD dst_unused:UNUSED_PAD src0_sel:WORD_1 src1_sel:DWORD
	v_fma_f16 v11, v98, v5, v11
	v_cvt_f32_f16_e32 v11, v11
	v_lshl_or_b32 v3, v3, 9, v0
	v_cmp_eq_u32_e32 vcc, s10, v7
	v_cndmask_b32_e32 v3, v8, v3, vcc
	v_cvt_f64_f32_e32 v[7:8], v11
	v_lshrrev_b32_e32 v4, 16, v4
	v_and_or_b32 v11, v4, s11, v3
	v_add_co_u32_e32 v1, vcc, s3, v1
	v_mul_f64 v[3:4], v[7:8], s[4:5]
	v_mov_b32_e32 v8, s2
	v_and_b32_e32 v9, 0xffff, v9
	v_addc_co_u32_e32 v2, vcc, v2, v8, vcc
	v_lshl_or_b32 v7, v11, 16, v9
	global_store_dword v[1:2], v7, off
	v_mul_f16_sdwa v5, v98, v5 dst_sel:DWORD dst_unused:UNUSED_PAD src0_sel:WORD_1 src1_sel:DWORD
	v_and_or_b32 v3, v4, s6, v3
	v_cmp_ne_u32_e32 vcc, 0, v3
	v_cndmask_b32_e64 v3, 0, 1, vcc
	v_lshrrev_b32_e32 v7, 8, v4
	v_bfe_u32 v8, v4, 20, 11
	v_and_or_b32 v3, v7, s7, v3
	v_sub_u32_e32 v9, 0x3f1, v8
	v_or_b32_e32 v7, 0x1000, v3
	v_med3_i32 v9, v9, 0, 13
	v_lshrrev_b32_e32 v11, v9, v7
	v_lshlrev_b32_e32 v9, v9, v11
	v_cmp_ne_u32_e32 vcc, v9, v7
	v_fma_f16 v5, v98, v10, -v5
	v_cndmask_b32_e64 v7, 0, 1, vcc
	v_add_u32_e32 v9, 0xfffffc10, v8
	v_cvt_f32_f16_e32 v5, v5
	v_or_b32_e32 v7, v11, v7
	v_lshl_or_b32 v8, v9, 12, v3
	v_cmp_gt_i32_e32 vcc, 1, v9
	v_cndmask_b32_e32 v7, v8, v7, vcc
	v_and_b32_e32 v8, 7, v7
	v_cmp_lt_i32_e32 vcc, 5, v8
	v_cmp_eq_u32_e64 s[0:1], 3, v8
	v_lshrrev_b32_e32 v10, 2, v7
	v_cvt_f64_f32_e32 v[7:8], v5
	s_or_b64 vcc, s[0:1], vcc
	v_addc_co_u32_e32 v5, vcc, 0, v10, vcc
	v_mul_f64 v[7:8], v[7:8], s[4:5]
	v_cmp_gt_i32_e32 vcc, 31, v9
	v_cndmask_b32_e32 v5, v0, v5, vcc
	v_cmp_ne_u32_e32 vcc, 0, v3
	v_cndmask_b32_e64 v3, 0, 1, vcc
	v_lshl_or_b32 v3, v3, 9, v0
	v_cmp_eq_u32_e32 vcc, s10, v9
	v_cndmask_b32_e32 v3, v5, v3, vcc
	v_lshrrev_b32_e32 v4, 16, v4
	v_and_or_b32 v5, v4, s11, v3
	v_and_or_b32 v3, v8, s6, v7
	v_cmp_ne_u32_e32 vcc, 0, v3
	v_cndmask_b32_e64 v3, 0, 1, vcc
	v_lshrrev_b32_e32 v4, 8, v8
	v_and_or_b32 v7, v4, s7, v3
	v_bfe_u32 v4, v8, 20, 11
	v_sub_u32_e32 v9, 0x3f1, v4
	v_or_b32_e32 v3, 0x1000, v7
	v_med3_i32 v9, v9, 0, 13
	v_lshrrev_b32_e32 v10, v9, v3
	v_lshlrev_b32_e32 v9, v9, v10
	v_cmp_ne_u32_e32 vcc, v9, v3
	v_cndmask_b32_e64 v3, 0, 1, vcc
	v_add_u32_e32 v9, 0xfffffc10, v4
	v_or_b32_e32 v3, v10, v3
	v_lshl_or_b32 v4, v9, 12, v7
	v_cmp_gt_i32_e32 vcc, 1, v9
	v_cndmask_b32_e32 v3, v4, v3, vcc
	v_and_b32_e32 v4, 7, v3
	v_cmp_lt_i32_e32 vcc, 5, v4
	v_cmp_eq_u32_e64 s[0:1], 3, v4
	v_lshrrev_b32_e32 v3, 2, v3
	s_or_b64 vcc, s[0:1], vcc
	v_addc_co_u32_e32 v10, vcc, 0, v3, vcc
	v_add_u32_e32 v3, 0x1000, v87
	ds_read2_b32 v[3:4], v3 offset0:110 offset1:173
	v_cmp_gt_i32_e32 vcc, 31, v9
	v_cndmask_b32_e32 v10, v0, v10, vcc
	v_cmp_ne_u32_e32 vcc, 0, v7
	v_cndmask_b32_e64 v7, 0, 1, vcc
	s_waitcnt lgkmcnt(0)
	v_lshrrev_b32_e32 v11, 16, v3
	v_mul_f16_sdwa v12, v99, v11 dst_sel:DWORD dst_unused:UNUSED_PAD src0_sel:WORD_1 src1_sel:DWORD
	v_fma_f16 v12, v99, v3, v12
	v_cvt_f32_f16_e32 v12, v12
	v_lshl_or_b32 v7, v7, 9, v0
	v_cmp_eq_u32_e32 vcc, s10, v9
	v_cndmask_b32_e32 v7, v10, v7, vcc
	v_cvt_f64_f32_e32 v[9:10], v12
	v_lshrrev_b32_e32 v8, 16, v8
	v_and_or_b32 v12, v8, s11, v7
	v_and_b32_e32 v5, 0xffff, v5
	v_mul_f64 v[7:8], v[9:10], s[4:5]
	v_mov_b32_e32 v9, s9
	v_add_co_u32_e32 v1, vcc, s8, v1
	v_lshl_or_b32 v5, v12, 16, v5
	v_addc_co_u32_e32 v2, vcc, v2, v9, vcc
	global_store_dword v[1:2], v5, off
	v_and_or_b32 v5, v8, s6, v7
	v_cmp_ne_u32_e32 vcc, 0, v5
	v_cndmask_b32_e64 v5, 0, 1, vcc
	v_lshrrev_b32_e32 v7, 8, v8
	v_bfe_u32 v9, v8, 20, 11
	v_and_or_b32 v5, v7, s7, v5
	v_sub_u32_e32 v10, 0x3f1, v9
	v_or_b32_e32 v7, 0x1000, v5
	v_med3_i32 v10, v10, 0, 13
	v_lshrrev_b32_e32 v12, v10, v7
	v_lshlrev_b32_e32 v10, v10, v12
	v_cmp_ne_u32_e32 vcc, v10, v7
	v_mul_f16_sdwa v3, v99, v3 dst_sel:DWORD dst_unused:UNUSED_PAD src0_sel:WORD_1 src1_sel:DWORD
	v_cndmask_b32_e64 v7, 0, 1, vcc
	v_fma_f16 v3, v99, v11, -v3
	v_or_b32_e32 v7, v12, v7
	v_add_u32_e32 v12, 0xfffffc10, v9
	v_cvt_f32_f16_e32 v3, v3
	v_lshl_or_b32 v9, v12, 12, v5
	v_cmp_gt_i32_e32 vcc, 1, v12
	v_cndmask_b32_e32 v7, v9, v7, vcc
	v_and_b32_e32 v9, 7, v7
	v_cmp_lt_i32_e32 vcc, 5, v9
	v_cmp_eq_u32_e64 s[0:1], 3, v9
	v_cvt_f64_f32_e32 v[9:10], v3
	v_lshrrev_b32_e32 v7, 2, v7
	s_or_b64 vcc, s[0:1], vcc
	v_addc_co_u32_e32 v3, vcc, 0, v7, vcc
	v_mul_f64 v[9:10], v[9:10], s[4:5]
	v_cmp_gt_i32_e32 vcc, 31, v12
	v_cndmask_b32_e32 v3, v0, v3, vcc
	v_cmp_ne_u32_e32 vcc, 0, v5
	v_cndmask_b32_e64 v5, 0, 1, vcc
	v_lshl_or_b32 v5, v5, 9, v0
	v_cmp_eq_u32_e32 vcc, s10, v12
	v_cndmask_b32_e32 v3, v3, v5, vcc
	v_lshrrev_b32_e32 v5, 16, v8
	v_and_or_b32 v3, v5, s11, v3
	v_and_or_b32 v5, v10, s6, v9
	v_cmp_ne_u32_e32 vcc, 0, v5
	v_cndmask_b32_e64 v5, 0, 1, vcc
	v_lshrrev_b32_e32 v7, 8, v10
	v_bfe_u32 v8, v10, 20, 11
	v_and_or_b32 v5, v7, s7, v5
	v_sub_u32_e32 v9, 0x3f1, v8
	v_or_b32_e32 v7, 0x1000, v5
	v_med3_i32 v9, v9, 0, 13
	v_lshrrev_b32_e32 v11, v9, v7
	v_lshlrev_b32_e32 v9, v9, v11
	v_cmp_ne_u32_e32 vcc, v9, v7
	v_cndmask_b32_e64 v7, 0, 1, vcc
	v_add_u32_e32 v8, 0xfffffc10, v8
	v_or_b32_e32 v7, v11, v7
	v_lshl_or_b32 v9, v8, 12, v5
	v_cmp_gt_i32_e32 vcc, 1, v8
	v_cndmask_b32_e32 v7, v9, v7, vcc
	v_and_b32_e32 v9, 7, v7
	v_cmp_lt_i32_e32 vcc, 5, v9
	v_cmp_eq_u32_e64 s[0:1], 3, v9
	v_lshrrev_b32_e32 v9, 16, v6
	v_lshrrev_b32_e32 v7, 2, v7
	s_or_b64 vcc, s[0:1], vcc
	v_mul_f16_sdwa v11, v96, v9 dst_sel:DWORD dst_unused:UNUSED_PAD src0_sel:WORD_1 src1_sel:DWORD
	v_addc_co_u32_e32 v7, vcc, 0, v7, vcc
	v_fma_f16 v11, v96, v6, v11
	v_cmp_gt_i32_e32 vcc, 31, v8
	v_cvt_f32_f16_e32 v11, v11
	v_cndmask_b32_e32 v7, v0, v7, vcc
	v_cmp_ne_u32_e32 vcc, 0, v5
	v_cndmask_b32_e64 v5, 0, 1, vcc
	v_lshl_or_b32 v5, v5, 9, v0
	v_cmp_eq_u32_e32 vcc, s10, v8
	v_cndmask_b32_e32 v5, v7, v5, vcc
	v_cvt_f64_f32_e32 v[7:8], v11
	v_lshrrev_b32_e32 v10, 16, v10
	v_and_or_b32 v5, v10, s11, v5
	v_and_b32_e32 v3, 0xffff, v3
	v_mul_f64 v[7:8], v[7:8], s[4:5]
	v_lshl_or_b32 v3, v5, 16, v3
	v_mov_b32_e32 v5, s2
	v_add_co_u32_e32 v1, vcc, s3, v1
	v_addc_co_u32_e32 v2, vcc, v2, v5, vcc
	global_store_dword v[1:2], v3, off
	v_and_or_b32 v3, v8, s6, v7
	v_cmp_ne_u32_e32 vcc, 0, v3
	v_cndmask_b32_e64 v3, 0, 1, vcc
	v_lshrrev_b32_e32 v5, 8, v8
	v_bfe_u32 v7, v8, 20, 11
	v_and_or_b32 v3, v5, s7, v3
	v_sub_u32_e32 v10, 0x3f1, v7
	v_or_b32_e32 v5, 0x1000, v3
	v_med3_i32 v10, v10, 0, 13
	v_lshrrev_b32_e32 v11, v10, v5
	v_mul_f16_sdwa v6, v96, v6 dst_sel:DWORD dst_unused:UNUSED_PAD src0_sel:WORD_1 src1_sel:DWORD
	v_lshlrev_b32_e32 v10, v10, v11
	v_fma_f16 v6, v96, v9, -v6
	v_cmp_ne_u32_e32 vcc, v10, v5
	v_cvt_f32_f16_e32 v6, v6
	v_cndmask_b32_e64 v5, 0, 1, vcc
	v_add_u32_e32 v7, 0xfffffc10, v7
	v_or_b32_e32 v5, v11, v5
	v_lshl_or_b32 v10, v7, 12, v3
	v_cmp_gt_i32_e32 vcc, 1, v7
	v_cndmask_b32_e32 v5, v10, v5, vcc
	v_and_b32_e32 v10, 7, v5
	v_lshrrev_b32_e32 v9, 2, v5
	v_cvt_f64_f32_e32 v[5:6], v6
	v_cmp_lt_i32_e32 vcc, 5, v10
	v_cmp_eq_u32_e64 s[0:1], 3, v10
	s_or_b64 vcc, s[0:1], vcc
	v_mul_f64 v[5:6], v[5:6], s[4:5]
	v_addc_co_u32_e32 v9, vcc, 0, v9, vcc
	v_cmp_gt_i32_e32 vcc, 31, v7
	v_cndmask_b32_e32 v9, v0, v9, vcc
	v_cmp_ne_u32_e32 vcc, 0, v3
	v_cndmask_b32_e64 v3, 0, 1, vcc
	v_lshl_or_b32 v3, v3, 9, v0
	v_cmp_eq_u32_e32 vcc, s10, v7
	v_and_or_b32 v5, v6, s6, v5
	v_cndmask_b32_e32 v3, v9, v3, vcc
	v_lshrrev_b32_e32 v7, 16, v8
	v_cmp_ne_u32_e32 vcc, 0, v5
	v_and_or_b32 v3, v7, s11, v3
	v_cndmask_b32_e64 v5, 0, 1, vcc
	v_lshrrev_b32_e32 v7, 8, v6
	v_bfe_u32 v8, v6, 20, 11
	v_and_or_b32 v5, v7, s7, v5
	v_sub_u32_e32 v9, 0x3f1, v8
	v_or_b32_e32 v7, 0x1000, v5
	v_med3_i32 v9, v9, 0, 13
	v_lshrrev_b32_e32 v10, v9, v7
	v_lshlrev_b32_e32 v9, v9, v10
	v_cmp_ne_u32_e32 vcc, v9, v7
	v_cndmask_b32_e64 v7, 0, 1, vcc
	v_add_u32_e32 v8, 0xfffffc10, v8
	v_or_b32_e32 v7, v10, v7
	v_lshl_or_b32 v9, v8, 12, v5
	v_cmp_gt_i32_e32 vcc, 1, v8
	v_cndmask_b32_e32 v7, v9, v7, vcc
	v_and_b32_e32 v9, 7, v7
	v_cmp_lt_i32_e32 vcc, 5, v9
	v_cmp_eq_u32_e64 s[0:1], 3, v9
	v_lshrrev_b32_e32 v9, 16, v4
	v_lshrrev_b32_e32 v7, 2, v7
	s_or_b64 vcc, s[0:1], vcc
	v_mul_f16_sdwa v10, v97, v9 dst_sel:DWORD dst_unused:UNUSED_PAD src0_sel:WORD_1 src1_sel:DWORD
	v_addc_co_u32_e32 v7, vcc, 0, v7, vcc
	v_fma_f16 v10, v97, v4, v10
	v_cmp_gt_i32_e32 vcc, 31, v8
	v_cvt_f32_f16_e32 v10, v10
	v_cndmask_b32_e32 v7, v0, v7, vcc
	v_cmp_ne_u32_e32 vcc, 0, v5
	v_cndmask_b32_e64 v5, 0, 1, vcc
	v_lshl_or_b32 v5, v5, 9, v0
	v_cmp_eq_u32_e32 vcc, s10, v8
	v_cndmask_b32_e32 v5, v7, v5, vcc
	v_cvt_f64_f32_e32 v[7:8], v10
	v_lshrrev_b32_e32 v6, 16, v6
	v_and_or_b32 v10, v6, s11, v5
	v_and_b32_e32 v3, 0xffff, v3
	v_mul_f64 v[5:6], v[7:8], s[4:5]
	v_mov_b32_e32 v7, s9
	v_add_co_u32_e32 v1, vcc, s8, v1
	v_lshl_or_b32 v3, v10, 16, v3
	v_addc_co_u32_e32 v2, vcc, v2, v7, vcc
	global_store_dword v[1:2], v3, off
	v_and_or_b32 v3, v6, s6, v5
	v_cmp_ne_u32_e32 vcc, 0, v3
	v_cndmask_b32_e64 v3, 0, 1, vcc
	v_lshrrev_b32_e32 v5, 8, v6
	v_bfe_u32 v7, v6, 20, 11
	v_and_or_b32 v5, v5, s7, v3
	v_sub_u32_e32 v8, 0x3f1, v7
	v_or_b32_e32 v3, 0x1000, v5
	v_med3_i32 v8, v8, 0, 13
	v_lshrrev_b32_e32 v10, v8, v3
	v_lshlrev_b32_e32 v8, v8, v10
	v_mul_f16_sdwa v4, v97, v4 dst_sel:DWORD dst_unused:UNUSED_PAD src0_sel:WORD_1 src1_sel:DWORD
	v_cmp_ne_u32_e32 vcc, v8, v3
	v_fma_f16 v4, v97, v9, -v4
	v_cndmask_b32_e64 v3, 0, 1, vcc
	v_add_u32_e32 v7, 0xfffffc10, v7
	v_cvt_f32_f16_e32 v4, v4
	v_or_b32_e32 v3, v10, v3
	v_lshl_or_b32 v8, v7, 12, v5
	v_cmp_gt_i32_e32 vcc, 1, v7
	v_cndmask_b32_e32 v3, v8, v3, vcc
	v_and_b32_e32 v8, 7, v3
	v_cmp_lt_i32_e32 vcc, 5, v8
	v_cmp_eq_u32_e64 s[0:1], 3, v8
	v_lshrrev_b32_e32 v8, 2, v3
	v_cvt_f64_f32_e32 v[3:4], v4
	s_or_b64 vcc, s[0:1], vcc
	v_addc_co_u32_e32 v8, vcc, 0, v8, vcc
	v_mul_f64 v[3:4], v[3:4], s[4:5]
	v_cmp_gt_i32_e32 vcc, 31, v7
	v_cndmask_b32_e32 v8, v0, v8, vcc
	v_cmp_ne_u32_e32 vcc, 0, v5
	v_cndmask_b32_e64 v5, 0, 1, vcc
	v_lshl_or_b32 v5, v5, 9, v0
	v_cmp_eq_u32_e32 vcc, s10, v7
	v_cndmask_b32_e32 v5, v8, v5, vcc
	v_and_or_b32 v3, v4, s6, v3
	v_lshrrev_b32_e32 v6, 16, v6
	v_cmp_ne_u32_e32 vcc, 0, v3
	v_and_or_b32 v9, v6, s11, v5
	v_cndmask_b32_e64 v3, 0, 1, vcc
	v_lshrrev_b32_e32 v5, 8, v4
	v_bfe_u32 v6, v4, 20, 11
	v_and_or_b32 v3, v5, s7, v3
	v_sub_u32_e32 v7, 0x3f1, v6
	v_or_b32_e32 v5, 0x1000, v3
	v_med3_i32 v7, v7, 0, 13
	v_lshrrev_b32_e32 v8, v7, v5
	v_lshlrev_b32_e32 v7, v7, v8
	v_cmp_ne_u32_e32 vcc, v7, v5
	v_cndmask_b32_e64 v5, 0, 1, vcc
	v_add_u32_e32 v7, 0xfffffc10, v6
	v_or_b32_e32 v5, v8, v5
	v_lshl_or_b32 v6, v7, 12, v3
	v_cmp_gt_i32_e32 vcc, 1, v7
	v_cndmask_b32_e32 v5, v6, v5, vcc
	v_and_b32_e32 v6, 7, v5
	v_cmp_lt_i32_e32 vcc, 5, v6
	v_cmp_eq_u32_e64 s[0:1], 3, v6
	v_lshrrev_b32_e32 v5, 2, v5
	s_or_b64 vcc, s[0:1], vcc
	v_addc_co_u32_e32 v8, vcc, 0, v5, vcc
	v_add_u32_e32 v5, 0x600, v87
	ds_read2_b32 v[5:6], v5 offset0:120 offset1:183
	v_cmp_gt_i32_e32 vcc, 31, v7
	v_cndmask_b32_e32 v8, v0, v8, vcc
	v_cmp_ne_u32_e32 vcc, 0, v3
	v_cndmask_b32_e64 v3, 0, 1, vcc
	s_waitcnt lgkmcnt(0)
	v_lshrrev_b32_e32 v10, 16, v5
	v_mul_f16_sdwa v11, v94, v10 dst_sel:DWORD dst_unused:UNUSED_PAD src0_sel:WORD_1 src1_sel:DWORD
	v_fma_f16 v11, v94, v5, v11
	v_cvt_f32_f16_e32 v11, v11
	v_lshl_or_b32 v3, v3, 9, v0
	v_cmp_eq_u32_e32 vcc, s10, v7
	v_cndmask_b32_e32 v3, v8, v3, vcc
	v_cvt_f64_f32_e32 v[7:8], v11
	v_lshrrev_b32_e32 v4, 16, v4
	v_and_or_b32 v11, v4, s11, v3
	v_add_co_u32_e32 v1, vcc, s3, v1
	v_mul_f64 v[3:4], v[7:8], s[4:5]
	v_mov_b32_e32 v8, s2
	v_and_b32_e32 v9, 0xffff, v9
	v_addc_co_u32_e32 v2, vcc, v2, v8, vcc
	v_lshl_or_b32 v7, v11, 16, v9
	global_store_dword v[1:2], v7, off
	v_mul_f16_sdwa v5, v94, v5 dst_sel:DWORD dst_unused:UNUSED_PAD src0_sel:WORD_1 src1_sel:DWORD
	v_and_or_b32 v3, v4, s6, v3
	v_cmp_ne_u32_e32 vcc, 0, v3
	v_cndmask_b32_e64 v3, 0, 1, vcc
	v_lshrrev_b32_e32 v7, 8, v4
	v_bfe_u32 v8, v4, 20, 11
	v_and_or_b32 v3, v7, s7, v3
	v_sub_u32_e32 v9, 0x3f1, v8
	v_or_b32_e32 v7, 0x1000, v3
	v_med3_i32 v9, v9, 0, 13
	v_lshrrev_b32_e32 v11, v9, v7
	v_lshlrev_b32_e32 v9, v9, v11
	v_cmp_ne_u32_e32 vcc, v9, v7
	v_fma_f16 v5, v94, v10, -v5
	v_cndmask_b32_e64 v7, 0, 1, vcc
	v_add_u32_e32 v9, 0xfffffc10, v8
	v_cvt_f32_f16_e32 v5, v5
	v_or_b32_e32 v7, v11, v7
	v_lshl_or_b32 v8, v9, 12, v3
	v_cmp_gt_i32_e32 vcc, 1, v9
	v_cndmask_b32_e32 v7, v8, v7, vcc
	v_and_b32_e32 v8, 7, v7
	v_cmp_lt_i32_e32 vcc, 5, v8
	v_cmp_eq_u32_e64 s[0:1], 3, v8
	v_lshrrev_b32_e32 v10, 2, v7
	v_cvt_f64_f32_e32 v[7:8], v5
	s_or_b64 vcc, s[0:1], vcc
	v_addc_co_u32_e32 v5, vcc, 0, v10, vcc
	v_mul_f64 v[7:8], v[7:8], s[4:5]
	v_cmp_gt_i32_e32 vcc, 31, v9
	v_cndmask_b32_e32 v5, v0, v5, vcc
	v_cmp_ne_u32_e32 vcc, 0, v3
	v_cndmask_b32_e64 v3, 0, 1, vcc
	v_lshl_or_b32 v3, v3, 9, v0
	v_cmp_eq_u32_e32 vcc, s10, v9
	v_cndmask_b32_e32 v3, v5, v3, vcc
	v_lshrrev_b32_e32 v4, 16, v4
	v_and_or_b32 v5, v4, s11, v3
	v_and_or_b32 v3, v8, s6, v7
	v_cmp_ne_u32_e32 vcc, 0, v3
	v_cndmask_b32_e64 v3, 0, 1, vcc
	v_lshrrev_b32_e32 v4, 8, v8
	v_and_or_b32 v7, v4, s7, v3
	v_bfe_u32 v4, v8, 20, 11
	v_sub_u32_e32 v9, 0x3f1, v4
	v_or_b32_e32 v3, 0x1000, v7
	v_med3_i32 v9, v9, 0, 13
	v_lshrrev_b32_e32 v10, v9, v3
	v_lshlrev_b32_e32 v9, v9, v10
	v_cmp_ne_u32_e32 vcc, v9, v3
	v_cndmask_b32_e64 v3, 0, 1, vcc
	v_add_u32_e32 v9, 0xfffffc10, v4
	v_or_b32_e32 v3, v10, v3
	v_lshl_or_b32 v4, v9, 12, v7
	v_cmp_gt_i32_e32 vcc, 1, v9
	v_cndmask_b32_e32 v3, v4, v3, vcc
	v_and_b32_e32 v4, 7, v3
	v_cmp_lt_i32_e32 vcc, 5, v4
	v_cmp_eq_u32_e64 s[0:1], 3, v4
	v_lshrrev_b32_e32 v3, 2, v3
	s_or_b64 vcc, s[0:1], vcc
	v_addc_co_u32_e32 v10, vcc, 0, v3, vcc
	v_add_u32_e32 v3, 0x1200, v87
	ds_read2_b32 v[3:4], v3 offset0:108 offset1:171
	v_cmp_gt_i32_e32 vcc, 31, v9
	v_cndmask_b32_e32 v10, v0, v10, vcc
	v_cmp_ne_u32_e32 vcc, 0, v7
	v_cndmask_b32_e64 v7, 0, 1, vcc
	s_waitcnt lgkmcnt(0)
	v_lshrrev_b32_e32 v11, 16, v3
	v_mul_f16_sdwa v12, v95, v11 dst_sel:DWORD dst_unused:UNUSED_PAD src0_sel:WORD_1 src1_sel:DWORD
	v_fma_f16 v12, v95, v3, v12
	v_cvt_f32_f16_e32 v12, v12
	v_lshl_or_b32 v7, v7, 9, v0
	v_cmp_eq_u32_e32 vcc, s10, v9
	v_cndmask_b32_e32 v7, v10, v7, vcc
	v_cvt_f64_f32_e32 v[9:10], v12
	v_lshrrev_b32_e32 v8, 16, v8
	v_and_or_b32 v12, v8, s11, v7
	v_and_b32_e32 v5, 0xffff, v5
	v_mul_f64 v[7:8], v[9:10], s[4:5]
	v_mov_b32_e32 v9, s9
	v_add_co_u32_e32 v1, vcc, s8, v1
	v_lshl_or_b32 v5, v12, 16, v5
	v_addc_co_u32_e32 v2, vcc, v2, v9, vcc
	global_store_dword v[1:2], v5, off
	v_and_or_b32 v5, v8, s6, v7
	v_cmp_ne_u32_e32 vcc, 0, v5
	v_cndmask_b32_e64 v5, 0, 1, vcc
	v_lshrrev_b32_e32 v7, 8, v8
	v_bfe_u32 v9, v8, 20, 11
	v_and_or_b32 v5, v7, s7, v5
	v_sub_u32_e32 v10, 0x3f1, v9
	v_or_b32_e32 v7, 0x1000, v5
	v_med3_i32 v10, v10, 0, 13
	v_lshrrev_b32_e32 v12, v10, v7
	v_lshlrev_b32_e32 v10, v10, v12
	v_cmp_ne_u32_e32 vcc, v10, v7
	v_mul_f16_sdwa v3, v95, v3 dst_sel:DWORD dst_unused:UNUSED_PAD src0_sel:WORD_1 src1_sel:DWORD
	v_cndmask_b32_e64 v7, 0, 1, vcc
	v_fma_f16 v3, v95, v11, -v3
	v_or_b32_e32 v7, v12, v7
	v_add_u32_e32 v12, 0xfffffc10, v9
	v_cvt_f32_f16_e32 v3, v3
	v_lshl_or_b32 v9, v12, 12, v5
	v_cmp_gt_i32_e32 vcc, 1, v12
	v_cndmask_b32_e32 v7, v9, v7, vcc
	v_and_b32_e32 v9, 7, v7
	v_cmp_lt_i32_e32 vcc, 5, v9
	v_cmp_eq_u32_e64 s[0:1], 3, v9
	v_cvt_f64_f32_e32 v[9:10], v3
	v_lshrrev_b32_e32 v7, 2, v7
	s_or_b64 vcc, s[0:1], vcc
	v_addc_co_u32_e32 v3, vcc, 0, v7, vcc
	v_mul_f64 v[9:10], v[9:10], s[4:5]
	v_cmp_gt_i32_e32 vcc, 31, v12
	v_cndmask_b32_e32 v3, v0, v3, vcc
	v_cmp_ne_u32_e32 vcc, 0, v5
	v_cndmask_b32_e64 v5, 0, 1, vcc
	v_lshl_or_b32 v5, v5, 9, v0
	v_cmp_eq_u32_e32 vcc, s10, v12
	v_cndmask_b32_e32 v3, v3, v5, vcc
	v_lshrrev_b32_e32 v5, 16, v8
	v_and_or_b32 v3, v5, s11, v3
	v_and_or_b32 v5, v10, s6, v9
	v_cmp_ne_u32_e32 vcc, 0, v5
	v_cndmask_b32_e64 v5, 0, 1, vcc
	v_lshrrev_b32_e32 v7, 8, v10
	v_bfe_u32 v8, v10, 20, 11
	v_and_or_b32 v5, v7, s7, v5
	v_sub_u32_e32 v9, 0x3f1, v8
	v_or_b32_e32 v7, 0x1000, v5
	v_med3_i32 v9, v9, 0, 13
	v_lshrrev_b32_e32 v11, v9, v7
	v_lshlrev_b32_e32 v9, v9, v11
	v_cmp_ne_u32_e32 vcc, v9, v7
	v_cndmask_b32_e64 v7, 0, 1, vcc
	v_add_u32_e32 v8, 0xfffffc10, v8
	v_or_b32_e32 v7, v11, v7
	v_lshl_or_b32 v9, v8, 12, v5
	v_cmp_gt_i32_e32 vcc, 1, v8
	v_cndmask_b32_e32 v7, v9, v7, vcc
	v_and_b32_e32 v9, 7, v7
	v_cmp_lt_i32_e32 vcc, 5, v9
	v_cmp_eq_u32_e64 s[0:1], 3, v9
	v_lshrrev_b32_e32 v9, 16, v6
	v_lshrrev_b32_e32 v7, 2, v7
	s_or_b64 vcc, s[0:1], vcc
	v_mul_f16_sdwa v11, v92, v9 dst_sel:DWORD dst_unused:UNUSED_PAD src0_sel:WORD_1 src1_sel:DWORD
	v_addc_co_u32_e32 v7, vcc, 0, v7, vcc
	v_fma_f16 v11, v92, v6, v11
	v_cmp_gt_i32_e32 vcc, 31, v8
	v_cvt_f32_f16_e32 v11, v11
	v_cndmask_b32_e32 v7, v0, v7, vcc
	v_cmp_ne_u32_e32 vcc, 0, v5
	v_cndmask_b32_e64 v5, 0, 1, vcc
	v_lshl_or_b32 v5, v5, 9, v0
	v_cmp_eq_u32_e32 vcc, s10, v8
	v_cndmask_b32_e32 v5, v7, v5, vcc
	v_cvt_f64_f32_e32 v[7:8], v11
	v_lshrrev_b32_e32 v10, 16, v10
	v_and_or_b32 v5, v10, s11, v5
	v_and_b32_e32 v3, 0xffff, v3
	v_mul_f64 v[7:8], v[7:8], s[4:5]
	v_lshl_or_b32 v3, v5, 16, v3
	v_mov_b32_e32 v5, s2
	v_add_co_u32_e32 v1, vcc, s3, v1
	v_addc_co_u32_e32 v2, vcc, v2, v5, vcc
	global_store_dword v[1:2], v3, off
	v_and_or_b32 v3, v8, s6, v7
	v_cmp_ne_u32_e32 vcc, 0, v3
	v_cndmask_b32_e64 v3, 0, 1, vcc
	v_lshrrev_b32_e32 v5, 8, v8
	v_bfe_u32 v7, v8, 20, 11
	v_and_or_b32 v3, v5, s7, v3
	v_sub_u32_e32 v10, 0x3f1, v7
	v_or_b32_e32 v5, 0x1000, v3
	v_med3_i32 v10, v10, 0, 13
	v_lshrrev_b32_e32 v11, v10, v5
	v_mul_f16_sdwa v6, v92, v6 dst_sel:DWORD dst_unused:UNUSED_PAD src0_sel:WORD_1 src1_sel:DWORD
	v_lshlrev_b32_e32 v10, v10, v11
	v_fma_f16 v6, v92, v9, -v6
	v_cmp_ne_u32_e32 vcc, v10, v5
	v_cvt_f32_f16_e32 v6, v6
	v_cndmask_b32_e64 v5, 0, 1, vcc
	v_add_u32_e32 v7, 0xfffffc10, v7
	v_or_b32_e32 v5, v11, v5
	v_lshl_or_b32 v10, v7, 12, v3
	v_cmp_gt_i32_e32 vcc, 1, v7
	v_cndmask_b32_e32 v5, v10, v5, vcc
	v_and_b32_e32 v10, 7, v5
	v_lshrrev_b32_e32 v9, 2, v5
	v_cvt_f64_f32_e32 v[5:6], v6
	v_cmp_lt_i32_e32 vcc, 5, v10
	v_cmp_eq_u32_e64 s[0:1], 3, v10
	s_or_b64 vcc, s[0:1], vcc
	v_mul_f64 v[5:6], v[5:6], s[4:5]
	v_addc_co_u32_e32 v9, vcc, 0, v9, vcc
	v_cmp_gt_i32_e32 vcc, 31, v7
	v_cndmask_b32_e32 v9, v0, v9, vcc
	v_cmp_ne_u32_e32 vcc, 0, v3
	v_cndmask_b32_e64 v3, 0, 1, vcc
	v_lshl_or_b32 v3, v3, 9, v0
	v_cmp_eq_u32_e32 vcc, s10, v7
	v_and_or_b32 v5, v6, s6, v5
	v_cndmask_b32_e32 v3, v9, v3, vcc
	v_lshrrev_b32_e32 v7, 16, v8
	v_cmp_ne_u32_e32 vcc, 0, v5
	v_and_or_b32 v3, v7, s11, v3
	v_cndmask_b32_e64 v5, 0, 1, vcc
	v_lshrrev_b32_e32 v7, 8, v6
	v_bfe_u32 v8, v6, 20, 11
	v_and_or_b32 v5, v7, s7, v5
	v_sub_u32_e32 v9, 0x3f1, v8
	v_or_b32_e32 v7, 0x1000, v5
	v_med3_i32 v9, v9, 0, 13
	v_lshrrev_b32_e32 v10, v9, v7
	v_lshlrev_b32_e32 v9, v9, v10
	v_cmp_ne_u32_e32 vcc, v9, v7
	v_cndmask_b32_e64 v7, 0, 1, vcc
	v_add_u32_e32 v8, 0xfffffc10, v8
	v_or_b32_e32 v7, v10, v7
	v_lshl_or_b32 v9, v8, 12, v5
	v_cmp_gt_i32_e32 vcc, 1, v8
	v_cndmask_b32_e32 v7, v9, v7, vcc
	v_and_b32_e32 v9, 7, v7
	v_cmp_lt_i32_e32 vcc, 5, v9
	v_cmp_eq_u32_e64 s[0:1], 3, v9
	v_lshrrev_b32_e32 v9, 16, v4
	v_lshrrev_b32_e32 v7, 2, v7
	s_or_b64 vcc, s[0:1], vcc
	v_mul_f16_sdwa v10, v93, v9 dst_sel:DWORD dst_unused:UNUSED_PAD src0_sel:WORD_1 src1_sel:DWORD
	v_addc_co_u32_e32 v7, vcc, 0, v7, vcc
	v_fma_f16 v10, v93, v4, v10
	v_cmp_gt_i32_e32 vcc, 31, v8
	v_cvt_f32_f16_e32 v10, v10
	v_cndmask_b32_e32 v7, v0, v7, vcc
	v_cmp_ne_u32_e32 vcc, 0, v5
	v_cndmask_b32_e64 v5, 0, 1, vcc
	v_lshl_or_b32 v5, v5, 9, v0
	v_cmp_eq_u32_e32 vcc, s10, v8
	v_cndmask_b32_e32 v5, v7, v5, vcc
	v_cvt_f64_f32_e32 v[7:8], v10
	v_lshrrev_b32_e32 v6, 16, v6
	v_and_or_b32 v10, v6, s11, v5
	v_and_b32_e32 v3, 0xffff, v3
	v_mul_f64 v[5:6], v[7:8], s[4:5]
	v_mov_b32_e32 v7, s9
	v_add_co_u32_e32 v1, vcc, s8, v1
	v_lshl_or_b32 v3, v10, 16, v3
	v_addc_co_u32_e32 v2, vcc, v2, v7, vcc
	global_store_dword v[1:2], v3, off
	v_and_or_b32 v3, v6, s6, v5
	v_cmp_ne_u32_e32 vcc, 0, v3
	v_cndmask_b32_e64 v3, 0, 1, vcc
	v_lshrrev_b32_e32 v5, 8, v6
	v_bfe_u32 v7, v6, 20, 11
	v_and_or_b32 v5, v5, s7, v3
	v_sub_u32_e32 v8, 0x3f1, v7
	v_or_b32_e32 v3, 0x1000, v5
	v_med3_i32 v8, v8, 0, 13
	v_lshrrev_b32_e32 v10, v8, v3
	v_lshlrev_b32_e32 v8, v8, v10
	v_mul_f16_sdwa v4, v93, v4 dst_sel:DWORD dst_unused:UNUSED_PAD src0_sel:WORD_1 src1_sel:DWORD
	v_cmp_ne_u32_e32 vcc, v8, v3
	v_fma_f16 v4, v93, v9, -v4
	v_cndmask_b32_e64 v3, 0, 1, vcc
	v_add_u32_e32 v7, 0xfffffc10, v7
	v_cvt_f32_f16_e32 v4, v4
	v_or_b32_e32 v3, v10, v3
	v_lshl_or_b32 v8, v7, 12, v5
	v_cmp_gt_i32_e32 vcc, 1, v7
	v_cndmask_b32_e32 v3, v8, v3, vcc
	v_and_b32_e32 v8, 7, v3
	v_cmp_lt_i32_e32 vcc, 5, v8
	v_cmp_eq_u32_e64 s[0:1], 3, v8
	v_lshrrev_b32_e32 v8, 2, v3
	v_cvt_f64_f32_e32 v[3:4], v4
	s_or_b64 vcc, s[0:1], vcc
	v_addc_co_u32_e32 v8, vcc, 0, v8, vcc
	v_mul_f64 v[3:4], v[3:4], s[4:5]
	v_cmp_gt_i32_e32 vcc, 31, v7
	v_cndmask_b32_e32 v8, v0, v8, vcc
	v_cmp_ne_u32_e32 vcc, 0, v5
	v_cndmask_b32_e64 v5, 0, 1, vcc
	v_lshl_or_b32 v5, v5, 9, v0
	v_cmp_eq_u32_e32 vcc, s10, v7
	v_cndmask_b32_e32 v5, v8, v5, vcc
	v_and_or_b32 v3, v4, s6, v3
	v_lshrrev_b32_e32 v6, 16, v6
	v_cmp_ne_u32_e32 vcc, 0, v3
	v_and_or_b32 v9, v6, s11, v5
	v_cndmask_b32_e64 v3, 0, 1, vcc
	v_lshrrev_b32_e32 v5, 8, v4
	v_bfe_u32 v6, v4, 20, 11
	v_and_or_b32 v3, v5, s7, v3
	v_sub_u32_e32 v7, 0x3f1, v6
	v_or_b32_e32 v5, 0x1000, v3
	v_med3_i32 v7, v7, 0, 13
	v_lshrrev_b32_e32 v8, v7, v5
	v_lshlrev_b32_e32 v7, v7, v8
	v_cmp_ne_u32_e32 vcc, v7, v5
	v_cndmask_b32_e64 v5, 0, 1, vcc
	v_add_u32_e32 v7, 0xfffffc10, v6
	v_or_b32_e32 v5, v8, v5
	v_lshl_or_b32 v6, v7, 12, v3
	v_cmp_gt_i32_e32 vcc, 1, v7
	v_cndmask_b32_e32 v5, v6, v5, vcc
	v_and_b32_e32 v6, 7, v5
	v_cmp_lt_i32_e32 vcc, 5, v6
	v_cmp_eq_u32_e64 s[0:1], 3, v6
	v_lshrrev_b32_e32 v5, 2, v5
	s_or_b64 vcc, s[0:1], vcc
	v_addc_co_u32_e32 v8, vcc, 0, v5, vcc
	v_add_u32_e32 v5, 0x800, v87
	ds_read2_b32 v[5:6], v5 offset0:118 offset1:181
	v_cmp_gt_i32_e32 vcc, 31, v7
	v_cndmask_b32_e32 v8, v0, v8, vcc
	v_cmp_ne_u32_e32 vcc, 0, v3
	v_cndmask_b32_e64 v3, 0, 1, vcc
	s_waitcnt lgkmcnt(0)
	v_lshrrev_b32_e32 v10, 16, v5
	v_mul_f16_sdwa v11, v90, v10 dst_sel:DWORD dst_unused:UNUSED_PAD src0_sel:WORD_1 src1_sel:DWORD
	v_fma_f16 v11, v90, v5, v11
	v_cvt_f32_f16_e32 v11, v11
	v_lshl_or_b32 v3, v3, 9, v0
	v_cmp_eq_u32_e32 vcc, s10, v7
	v_cndmask_b32_e32 v3, v8, v3, vcc
	v_cvt_f64_f32_e32 v[7:8], v11
	v_lshrrev_b32_e32 v4, 16, v4
	v_and_or_b32 v11, v4, s11, v3
	v_add_co_u32_e32 v1, vcc, s3, v1
	v_mul_f64 v[3:4], v[7:8], s[4:5]
	v_mov_b32_e32 v8, s2
	v_and_b32_e32 v9, 0xffff, v9
	v_addc_co_u32_e32 v2, vcc, v2, v8, vcc
	v_lshl_or_b32 v7, v11, 16, v9
	global_store_dword v[1:2], v7, off
	v_mul_f16_sdwa v5, v90, v5 dst_sel:DWORD dst_unused:UNUSED_PAD src0_sel:WORD_1 src1_sel:DWORD
	v_and_or_b32 v3, v4, s6, v3
	v_cmp_ne_u32_e32 vcc, 0, v3
	v_cndmask_b32_e64 v3, 0, 1, vcc
	v_lshrrev_b32_e32 v7, 8, v4
	v_bfe_u32 v8, v4, 20, 11
	v_and_or_b32 v3, v7, s7, v3
	v_sub_u32_e32 v9, 0x3f1, v8
	v_or_b32_e32 v7, 0x1000, v3
	v_med3_i32 v9, v9, 0, 13
	v_lshrrev_b32_e32 v11, v9, v7
	v_lshlrev_b32_e32 v9, v9, v11
	v_cmp_ne_u32_e32 vcc, v9, v7
	v_fma_f16 v5, v90, v10, -v5
	v_cndmask_b32_e64 v7, 0, 1, vcc
	v_add_u32_e32 v9, 0xfffffc10, v8
	v_cvt_f32_f16_e32 v5, v5
	v_or_b32_e32 v7, v11, v7
	v_lshl_or_b32 v8, v9, 12, v3
	v_cmp_gt_i32_e32 vcc, 1, v9
	v_cndmask_b32_e32 v7, v8, v7, vcc
	v_and_b32_e32 v8, 7, v7
	v_cmp_lt_i32_e32 vcc, 5, v8
	v_cmp_eq_u32_e64 s[0:1], 3, v8
	v_lshrrev_b32_e32 v10, 2, v7
	v_cvt_f64_f32_e32 v[7:8], v5
	s_or_b64 vcc, s[0:1], vcc
	v_addc_co_u32_e32 v5, vcc, 0, v10, vcc
	v_mul_f64 v[7:8], v[7:8], s[4:5]
	v_cmp_gt_i32_e32 vcc, 31, v9
	v_cndmask_b32_e32 v5, v0, v5, vcc
	v_cmp_ne_u32_e32 vcc, 0, v3
	v_cndmask_b32_e64 v3, 0, 1, vcc
	v_lshl_or_b32 v3, v3, 9, v0
	v_cmp_eq_u32_e32 vcc, s10, v9
	v_cndmask_b32_e32 v3, v5, v3, vcc
	v_lshrrev_b32_e32 v4, 16, v4
	v_and_or_b32 v5, v4, s11, v3
	v_and_or_b32 v3, v8, s6, v7
	v_cmp_ne_u32_e32 vcc, 0, v3
	v_cndmask_b32_e64 v3, 0, 1, vcc
	v_lshrrev_b32_e32 v4, 8, v8
	v_and_or_b32 v7, v4, s7, v3
	v_bfe_u32 v4, v8, 20, 11
	v_sub_u32_e32 v9, 0x3f1, v4
	v_or_b32_e32 v3, 0x1000, v7
	v_med3_i32 v9, v9, 0, 13
	v_lshrrev_b32_e32 v10, v9, v3
	v_lshlrev_b32_e32 v9, v9, v10
	v_cmp_ne_u32_e32 vcc, v9, v3
	v_cndmask_b32_e64 v3, 0, 1, vcc
	v_add_u32_e32 v9, 0xfffffc10, v4
	v_or_b32_e32 v3, v10, v3
	v_lshl_or_b32 v4, v9, 12, v7
	v_cmp_gt_i32_e32 vcc, 1, v9
	v_cndmask_b32_e32 v3, v4, v3, vcc
	v_and_b32_e32 v4, 7, v3
	v_cmp_lt_i32_e32 vcc, 5, v4
	v_cmp_eq_u32_e64 s[0:1], 3, v4
	v_lshrrev_b32_e32 v3, 2, v3
	s_or_b64 vcc, s[0:1], vcc
	v_addc_co_u32_e32 v10, vcc, 0, v3, vcc
	v_add_u32_e32 v3, 0x1400, v87
	ds_read2_b32 v[3:4], v3 offset0:106 offset1:169
	v_cmp_gt_i32_e32 vcc, 31, v9
	v_cndmask_b32_e32 v10, v0, v10, vcc
	v_cmp_ne_u32_e32 vcc, 0, v7
	v_cndmask_b32_e64 v7, 0, 1, vcc
	s_waitcnt lgkmcnt(0)
	v_lshrrev_b32_e32 v11, 16, v3
	v_mul_f16_sdwa v12, v91, v11 dst_sel:DWORD dst_unused:UNUSED_PAD src0_sel:WORD_1 src1_sel:DWORD
	v_fma_f16 v12, v91, v3, v12
	v_cvt_f32_f16_e32 v12, v12
	v_lshl_or_b32 v7, v7, 9, v0
	v_cmp_eq_u32_e32 vcc, s10, v9
	v_cndmask_b32_e32 v7, v10, v7, vcc
	v_cvt_f64_f32_e32 v[9:10], v12
	v_lshrrev_b32_e32 v8, 16, v8
	v_and_or_b32 v12, v8, s11, v7
	v_and_b32_e32 v5, 0xffff, v5
	v_mul_f64 v[7:8], v[9:10], s[4:5]
	v_mov_b32_e32 v9, s9
	v_add_co_u32_e32 v1, vcc, s8, v1
	v_lshl_or_b32 v5, v12, 16, v5
	v_addc_co_u32_e32 v2, vcc, v2, v9, vcc
	global_store_dword v[1:2], v5, off
	v_and_or_b32 v5, v8, s6, v7
	v_cmp_ne_u32_e32 vcc, 0, v5
	v_cndmask_b32_e64 v5, 0, 1, vcc
	v_lshrrev_b32_e32 v7, 8, v8
	v_bfe_u32 v9, v8, 20, 11
	v_and_or_b32 v5, v7, s7, v5
	v_sub_u32_e32 v10, 0x3f1, v9
	v_or_b32_e32 v7, 0x1000, v5
	v_med3_i32 v10, v10, 0, 13
	v_lshrrev_b32_e32 v12, v10, v7
	v_lshlrev_b32_e32 v10, v10, v12
	v_cmp_ne_u32_e32 vcc, v10, v7
	v_mul_f16_sdwa v3, v91, v3 dst_sel:DWORD dst_unused:UNUSED_PAD src0_sel:WORD_1 src1_sel:DWORD
	v_cndmask_b32_e64 v7, 0, 1, vcc
	v_fma_f16 v3, v91, v11, -v3
	v_or_b32_e32 v7, v12, v7
	v_add_u32_e32 v12, 0xfffffc10, v9
	v_cvt_f32_f16_e32 v3, v3
	v_lshl_or_b32 v9, v12, 12, v5
	v_cmp_gt_i32_e32 vcc, 1, v12
	v_cndmask_b32_e32 v7, v9, v7, vcc
	v_and_b32_e32 v9, 7, v7
	v_cmp_lt_i32_e32 vcc, 5, v9
	v_cmp_eq_u32_e64 s[0:1], 3, v9
	v_cvt_f64_f32_e32 v[9:10], v3
	v_lshrrev_b32_e32 v7, 2, v7
	s_or_b64 vcc, s[0:1], vcc
	v_addc_co_u32_e32 v3, vcc, 0, v7, vcc
	v_mul_f64 v[9:10], v[9:10], s[4:5]
	v_cmp_gt_i32_e32 vcc, 31, v12
	v_cndmask_b32_e32 v3, v0, v3, vcc
	v_cmp_ne_u32_e32 vcc, 0, v5
	v_cndmask_b32_e64 v5, 0, 1, vcc
	v_lshl_or_b32 v5, v5, 9, v0
	v_cmp_eq_u32_e32 vcc, s10, v12
	v_cndmask_b32_e32 v3, v3, v5, vcc
	v_lshrrev_b32_e32 v5, 16, v8
	v_and_or_b32 v3, v5, s11, v3
	v_and_or_b32 v5, v10, s6, v9
	v_cmp_ne_u32_e32 vcc, 0, v5
	v_cndmask_b32_e64 v5, 0, 1, vcc
	v_lshrrev_b32_e32 v7, 8, v10
	v_bfe_u32 v8, v10, 20, 11
	v_and_or_b32 v5, v7, s7, v5
	v_sub_u32_e32 v9, 0x3f1, v8
	v_or_b32_e32 v7, 0x1000, v5
	v_med3_i32 v9, v9, 0, 13
	v_lshrrev_b32_e32 v11, v9, v7
	v_lshlrev_b32_e32 v9, v9, v11
	v_cmp_ne_u32_e32 vcc, v9, v7
	v_cndmask_b32_e64 v7, 0, 1, vcc
	v_add_u32_e32 v8, 0xfffffc10, v8
	v_or_b32_e32 v7, v11, v7
	v_lshl_or_b32 v9, v8, 12, v5
	v_cmp_gt_i32_e32 vcc, 1, v8
	v_cndmask_b32_e32 v7, v9, v7, vcc
	v_and_b32_e32 v9, 7, v7
	v_cmp_lt_i32_e32 vcc, 5, v9
	v_cmp_eq_u32_e64 s[0:1], 3, v9
	v_lshrrev_b32_e32 v9, 16, v6
	v_lshrrev_b32_e32 v7, 2, v7
	s_or_b64 vcc, s[0:1], vcc
	v_mul_f16_sdwa v11, v88, v9 dst_sel:DWORD dst_unused:UNUSED_PAD src0_sel:WORD_1 src1_sel:DWORD
	v_addc_co_u32_e32 v7, vcc, 0, v7, vcc
	v_fma_f16 v11, v88, v6, v11
	v_cmp_gt_i32_e32 vcc, 31, v8
	v_cvt_f32_f16_e32 v11, v11
	v_cndmask_b32_e32 v7, v0, v7, vcc
	v_cmp_ne_u32_e32 vcc, 0, v5
	v_cndmask_b32_e64 v5, 0, 1, vcc
	v_lshl_or_b32 v5, v5, 9, v0
	v_cmp_eq_u32_e32 vcc, s10, v8
	v_cndmask_b32_e32 v5, v7, v5, vcc
	v_cvt_f64_f32_e32 v[7:8], v11
	v_lshrrev_b32_e32 v10, 16, v10
	v_and_or_b32 v5, v10, s11, v5
	v_and_b32_e32 v3, 0xffff, v3
	v_mul_f64 v[7:8], v[7:8], s[4:5]
	v_lshl_or_b32 v3, v5, 16, v3
	v_mov_b32_e32 v5, s2
	v_add_co_u32_e32 v1, vcc, s3, v1
	v_addc_co_u32_e32 v2, vcc, v2, v5, vcc
	global_store_dword v[1:2], v3, off
	v_and_or_b32 v3, v8, s6, v7
	v_cmp_ne_u32_e32 vcc, 0, v3
	v_cndmask_b32_e64 v3, 0, 1, vcc
	v_lshrrev_b32_e32 v5, 8, v8
	v_bfe_u32 v7, v8, 20, 11
	v_and_or_b32 v3, v5, s7, v3
	v_sub_u32_e32 v10, 0x3f1, v7
	v_or_b32_e32 v5, 0x1000, v3
	v_med3_i32 v10, v10, 0, 13
	v_lshrrev_b32_e32 v11, v10, v5
	v_mul_f16_sdwa v6, v88, v6 dst_sel:DWORD dst_unused:UNUSED_PAD src0_sel:WORD_1 src1_sel:DWORD
	v_lshlrev_b32_e32 v10, v10, v11
	v_fma_f16 v6, v88, v9, -v6
	v_cmp_ne_u32_e32 vcc, v10, v5
	v_cvt_f32_f16_e32 v6, v6
	v_cndmask_b32_e64 v5, 0, 1, vcc
	v_add_u32_e32 v7, 0xfffffc10, v7
	v_or_b32_e32 v5, v11, v5
	v_lshl_or_b32 v10, v7, 12, v3
	v_cmp_gt_i32_e32 vcc, 1, v7
	v_cndmask_b32_e32 v5, v10, v5, vcc
	v_and_b32_e32 v10, 7, v5
	v_lshrrev_b32_e32 v9, 2, v5
	v_cvt_f64_f32_e32 v[5:6], v6
	v_cmp_lt_i32_e32 vcc, 5, v10
	v_cmp_eq_u32_e64 s[0:1], 3, v10
	s_or_b64 vcc, s[0:1], vcc
	v_mul_f64 v[5:6], v[5:6], s[4:5]
	v_addc_co_u32_e32 v9, vcc, 0, v9, vcc
	v_cmp_gt_i32_e32 vcc, 31, v7
	v_cndmask_b32_e32 v9, v0, v9, vcc
	v_cmp_ne_u32_e32 vcc, 0, v3
	v_cndmask_b32_e64 v3, 0, 1, vcc
	v_lshl_or_b32 v3, v3, 9, v0
	v_cmp_eq_u32_e32 vcc, s10, v7
	v_and_or_b32 v5, v6, s6, v5
	v_cndmask_b32_e32 v3, v9, v3, vcc
	v_lshrrev_b32_e32 v7, 16, v8
	v_cmp_ne_u32_e32 vcc, 0, v5
	v_and_or_b32 v3, v7, s11, v3
	v_cndmask_b32_e64 v5, 0, 1, vcc
	v_lshrrev_b32_e32 v7, 8, v6
	v_bfe_u32 v8, v6, 20, 11
	v_and_or_b32 v5, v7, s7, v5
	v_sub_u32_e32 v9, 0x3f1, v8
	v_or_b32_e32 v7, 0x1000, v5
	v_med3_i32 v9, v9, 0, 13
	v_lshrrev_b32_e32 v10, v9, v7
	v_lshlrev_b32_e32 v9, v9, v10
	v_cmp_ne_u32_e32 vcc, v9, v7
	v_cndmask_b32_e64 v7, 0, 1, vcc
	v_add_u32_e32 v8, 0xfffffc10, v8
	v_or_b32_e32 v7, v10, v7
	v_lshl_or_b32 v9, v8, 12, v5
	v_cmp_gt_i32_e32 vcc, 1, v8
	v_cndmask_b32_e32 v7, v9, v7, vcc
	v_and_b32_e32 v9, 7, v7
	v_cmp_lt_i32_e32 vcc, 5, v9
	v_cmp_eq_u32_e64 s[0:1], 3, v9
	v_lshrrev_b32_e32 v9, 16, v4
	v_lshrrev_b32_e32 v7, 2, v7
	s_or_b64 vcc, s[0:1], vcc
	v_mul_f16_sdwa v10, v89, v9 dst_sel:DWORD dst_unused:UNUSED_PAD src0_sel:WORD_1 src1_sel:DWORD
	v_addc_co_u32_e32 v7, vcc, 0, v7, vcc
	v_fma_f16 v10, v89, v4, v10
	v_cmp_gt_i32_e32 vcc, 31, v8
	v_cvt_f32_f16_e32 v10, v10
	v_cndmask_b32_e32 v7, v0, v7, vcc
	v_cmp_ne_u32_e32 vcc, 0, v5
	v_cndmask_b32_e64 v5, 0, 1, vcc
	v_lshl_or_b32 v5, v5, 9, v0
	v_cmp_eq_u32_e32 vcc, s10, v8
	v_cndmask_b32_e32 v5, v7, v5, vcc
	v_cvt_f64_f32_e32 v[7:8], v10
	v_lshrrev_b32_e32 v6, 16, v6
	v_and_or_b32 v10, v6, s11, v5
	v_and_b32_e32 v3, 0xffff, v3
	v_mul_f64 v[5:6], v[7:8], s[4:5]
	v_mov_b32_e32 v7, s9
	v_add_co_u32_e32 v1, vcc, s8, v1
	v_lshl_or_b32 v3, v10, 16, v3
	v_addc_co_u32_e32 v2, vcc, v2, v7, vcc
	global_store_dword v[1:2], v3, off
	v_and_or_b32 v3, v6, s6, v5
	v_cmp_ne_u32_e32 vcc, 0, v3
	v_cndmask_b32_e64 v3, 0, 1, vcc
	v_lshrrev_b32_e32 v5, 8, v6
	v_bfe_u32 v7, v6, 20, 11
	v_and_or_b32 v5, v5, s7, v3
	v_sub_u32_e32 v8, 0x3f1, v7
	v_or_b32_e32 v3, 0x1000, v5
	v_med3_i32 v8, v8, 0, 13
	v_lshrrev_b32_e32 v10, v8, v3
	v_lshlrev_b32_e32 v8, v8, v10
	v_mul_f16_sdwa v4, v89, v4 dst_sel:DWORD dst_unused:UNUSED_PAD src0_sel:WORD_1 src1_sel:DWORD
	v_cmp_ne_u32_e32 vcc, v8, v3
	v_fma_f16 v4, v89, v9, -v4
	v_cndmask_b32_e64 v3, 0, 1, vcc
	v_add_u32_e32 v7, 0xfffffc10, v7
	v_cvt_f32_f16_e32 v4, v4
	v_or_b32_e32 v3, v10, v3
	v_lshl_or_b32 v8, v7, 12, v5
	v_cmp_gt_i32_e32 vcc, 1, v7
	v_cndmask_b32_e32 v3, v8, v3, vcc
	v_and_b32_e32 v8, 7, v3
	v_cmp_lt_i32_e32 vcc, 5, v8
	v_cmp_eq_u32_e64 s[0:1], 3, v8
	v_lshrrev_b32_e32 v8, 2, v3
	v_cvt_f64_f32_e32 v[3:4], v4
	s_or_b64 vcc, s[0:1], vcc
	v_addc_co_u32_e32 v8, vcc, 0, v8, vcc
	v_mul_f64 v[3:4], v[3:4], s[4:5]
	v_cmp_gt_i32_e32 vcc, 31, v7
	v_cndmask_b32_e32 v8, v0, v8, vcc
	v_cmp_ne_u32_e32 vcc, 0, v5
	v_cndmask_b32_e64 v5, 0, 1, vcc
	v_lshl_or_b32 v5, v5, 9, v0
	v_cmp_eq_u32_e32 vcc, s10, v7
	v_cndmask_b32_e32 v5, v8, v5, vcc
	v_and_or_b32 v3, v4, s6, v3
	v_lshrrev_b32_e32 v6, 16, v6
	v_cmp_ne_u32_e32 vcc, 0, v3
	v_and_or_b32 v5, v6, s11, v5
	v_cndmask_b32_e64 v3, 0, 1, vcc
	v_lshrrev_b32_e32 v6, 8, v4
	v_bfe_u32 v7, v4, 20, 11
	v_and_or_b32 v3, v6, s7, v3
	v_sub_u32_e32 v8, 0x3f1, v7
	v_or_b32_e32 v6, 0x1000, v3
	v_med3_i32 v8, v8, 0, 13
	v_lshrrev_b32_e32 v9, v8, v6
	v_lshlrev_b32_e32 v8, v8, v9
	v_cmp_ne_u32_e32 vcc, v8, v6
	v_cndmask_b32_e64 v6, 0, 1, vcc
	v_add_u32_e32 v7, 0xfffffc10, v7
	v_or_b32_e32 v6, v9, v6
	v_lshl_or_b32 v8, v7, 12, v3
	v_cmp_gt_i32_e32 vcc, 1, v7
	v_cndmask_b32_e32 v6, v8, v6, vcc
	v_and_b32_e32 v8, 7, v6
	v_cmp_lt_i32_e32 vcc, 5, v8
	v_cmp_eq_u32_e64 s[0:1], 3, v8
	v_lshrrev_b32_e32 v6, 2, v6
	s_or_b64 vcc, s[0:1], vcc
	v_addc_co_u32_e32 v6, vcc, 0, v6, vcc
	v_cmp_gt_i32_e32 vcc, 31, v7
	v_cndmask_b32_e32 v6, v0, v6, vcc
	v_cmp_ne_u32_e32 vcc, 0, v3
	v_cndmask_b32_e64 v3, 0, 1, vcc
	v_lshl_or_b32 v0, v3, 9, v0
	v_cmp_eq_u32_e32 vcc, s10, v7
	v_cndmask_b32_e32 v0, v6, v0, vcc
	v_lshrrev_b32_e32 v3, 16, v4
	v_and_or_b32 v0, v3, s11, v0
	v_and_b32_e32 v3, 0xffff, v5
	v_lshl_or_b32 v3, v0, 16, v3
	v_mov_b32_e32 v4, s2
	v_add_co_u32_e32 v0, vcc, s3, v1
	v_addc_co_u32_e32 v1, vcc, v2, v4, vcc
	global_store_dword v[0:1], v3, off
.LBB0_10:
	s_endpgm
	.section	.rodata,"a",@progbits
	.p2align	6, 0x0
	.amdhsa_kernel bluestein_single_back_len1512_dim1_half_op_CI_CI
		.amdhsa_group_segment_fixed_size 6048
		.amdhsa_private_segment_fixed_size 0
		.amdhsa_kernarg_size 104
		.amdhsa_user_sgpr_count 6
		.amdhsa_user_sgpr_private_segment_buffer 1
		.amdhsa_user_sgpr_dispatch_ptr 0
		.amdhsa_user_sgpr_queue_ptr 0
		.amdhsa_user_sgpr_kernarg_segment_ptr 1
		.amdhsa_user_sgpr_dispatch_id 0
		.amdhsa_user_sgpr_flat_scratch_init 0
		.amdhsa_user_sgpr_private_segment_size 0
		.amdhsa_uses_dynamic_stack 0
		.amdhsa_system_sgpr_private_segment_wavefront_offset 0
		.amdhsa_system_sgpr_workgroup_id_x 1
		.amdhsa_system_sgpr_workgroup_id_y 0
		.amdhsa_system_sgpr_workgroup_id_z 0
		.amdhsa_system_sgpr_workgroup_info 0
		.amdhsa_system_vgpr_workitem_id 0
		.amdhsa_next_free_vgpr 253
		.amdhsa_next_free_sgpr 20
		.amdhsa_reserve_vcc 1
		.amdhsa_reserve_flat_scratch 0
		.amdhsa_float_round_mode_32 0
		.amdhsa_float_round_mode_16_64 0
		.amdhsa_float_denorm_mode_32 3
		.amdhsa_float_denorm_mode_16_64 3
		.amdhsa_dx10_clamp 1
		.amdhsa_ieee_mode 1
		.amdhsa_fp16_overflow 0
		.amdhsa_exception_fp_ieee_invalid_op 0
		.amdhsa_exception_fp_denorm_src 0
		.amdhsa_exception_fp_ieee_div_zero 0
		.amdhsa_exception_fp_ieee_overflow 0
		.amdhsa_exception_fp_ieee_underflow 0
		.amdhsa_exception_fp_ieee_inexact 0
		.amdhsa_exception_int_div_zero 0
	.end_amdhsa_kernel
	.text
.Lfunc_end0:
	.size	bluestein_single_back_len1512_dim1_half_op_CI_CI, .Lfunc_end0-bluestein_single_back_len1512_dim1_half_op_CI_CI
                                        ; -- End function
	.section	.AMDGPU.csdata,"",@progbits
; Kernel info:
; codeLenInByte = 40432
; NumSgprs: 24
; NumVgprs: 253
; ScratchSize: 0
; MemoryBound: 0
; FloatMode: 240
; IeeeMode: 1
; LDSByteSize: 6048 bytes/workgroup (compile time only)
; SGPRBlocks: 2
; VGPRBlocks: 63
; NumSGPRsForWavesPerEU: 24
; NumVGPRsForWavesPerEU: 253
; Occupancy: 1
; WaveLimiterHint : 1
; COMPUTE_PGM_RSRC2:SCRATCH_EN: 0
; COMPUTE_PGM_RSRC2:USER_SGPR: 6
; COMPUTE_PGM_RSRC2:TRAP_HANDLER: 0
; COMPUTE_PGM_RSRC2:TGID_X_EN: 1
; COMPUTE_PGM_RSRC2:TGID_Y_EN: 0
; COMPUTE_PGM_RSRC2:TGID_Z_EN: 0
; COMPUTE_PGM_RSRC2:TIDIG_COMP_CNT: 0
	.type	__hip_cuid_168c998733d67995,@object ; @__hip_cuid_168c998733d67995
	.section	.bss,"aw",@nobits
	.globl	__hip_cuid_168c998733d67995
__hip_cuid_168c998733d67995:
	.byte	0                               ; 0x0
	.size	__hip_cuid_168c998733d67995, 1

	.ident	"AMD clang version 19.0.0git (https://github.com/RadeonOpenCompute/llvm-project roc-6.4.0 25133 c7fe45cf4b819c5991fe208aaa96edf142730f1d)"
	.section	".note.GNU-stack","",@progbits
	.addrsig
	.addrsig_sym __hip_cuid_168c998733d67995
	.amdgpu_metadata
---
amdhsa.kernels:
  - .args:
      - .actual_access:  read_only
        .address_space:  global
        .offset:         0
        .size:           8
        .value_kind:     global_buffer
      - .actual_access:  read_only
        .address_space:  global
        .offset:         8
        .size:           8
        .value_kind:     global_buffer
      - .actual_access:  read_only
        .address_space:  global
        .offset:         16
        .size:           8
        .value_kind:     global_buffer
      - .actual_access:  read_only
        .address_space:  global
        .offset:         24
        .size:           8
        .value_kind:     global_buffer
      - .actual_access:  read_only
        .address_space:  global
        .offset:         32
        .size:           8
        .value_kind:     global_buffer
      - .offset:         40
        .size:           8
        .value_kind:     by_value
      - .address_space:  global
        .offset:         48
        .size:           8
        .value_kind:     global_buffer
      - .address_space:  global
        .offset:         56
        .size:           8
        .value_kind:     global_buffer
      - .address_space:  global
        .offset:         64
        .size:           8
        .value_kind:     global_buffer
      - .address_space:  global
        .offset:         72
        .size:           8
        .value_kind:     global_buffer
      - .offset:         80
        .size:           4
        .value_kind:     by_value
      - .address_space:  global
        .offset:         88
        .size:           8
        .value_kind:     global_buffer
      - .address_space:  global
        .offset:         96
        .size:           8
        .value_kind:     global_buffer
    .group_segment_fixed_size: 6048
    .kernarg_segment_align: 8
    .kernarg_segment_size: 104
    .language:       OpenCL C
    .language_version:
      - 2
      - 0
    .max_flat_workgroup_size: 63
    .name:           bluestein_single_back_len1512_dim1_half_op_CI_CI
    .private_segment_fixed_size: 0
    .sgpr_count:     24
    .sgpr_spill_count: 0
    .symbol:         bluestein_single_back_len1512_dim1_half_op_CI_CI.kd
    .uniform_work_group_size: 1
    .uses_dynamic_stack: false
    .vgpr_count:     253
    .vgpr_spill_count: 0
    .wavefront_size: 64
amdhsa.target:   amdgcn-amd-amdhsa--gfx906
amdhsa.version:
  - 1
  - 2
...

	.end_amdgpu_metadata
